;; amdgpu-corpus repo=ROCm/rocFFT kind=compiled arch=gfx950 opt=O3
	.text
	.amdgcn_target "amdgcn-amd-amdhsa--gfx950"
	.amdhsa_code_object_version 6
	.protected	bluestein_single_fwd_len2916_dim1_sp_op_CI_CI ; -- Begin function bluestein_single_fwd_len2916_dim1_sp_op_CI_CI
	.globl	bluestein_single_fwd_len2916_dim1_sp_op_CI_CI
	.p2align	8
	.type	bluestein_single_fwd_len2916_dim1_sp_op_CI_CI,@function
bluestein_single_fwd_len2916_dim1_sp_op_CI_CI: ; @bluestein_single_fwd_len2916_dim1_sp_op_CI_CI
; %bb.0:
	s_load_dwordx4 s[16:19], s[0:1], 0x28
	v_mul_u32_u24_e32 v1, 0x10e, v0
	v_add_u32_sdwa v82, s2, v1 dst_sel:DWORD dst_unused:UNUSED_PAD src0_sel:DWORD src1_sel:WORD_1
	v_mov_b32_e32 v83, 0
	s_waitcnt lgkmcnt(0)
	v_cmp_gt_u64_e32 vcc, s[16:17], v[82:83]
	s_and_saveexec_b64 s[2:3], vcc
	s_cbranch_execz .LBB0_2
; %bb.1:
	s_load_dwordx4 s[12:15], s[0:1], 0x18
	s_load_dwordx4 s[8:11], s[0:1], 0x0
	v_mov_b32_e32 v2, s18
	v_mov_b32_e32 v3, s19
	;; [unrolled: 1-line block ×3, first 2 shown]
	s_waitcnt lgkmcnt(0)
	s_load_dwordx4 s[4:7], s[14:15], 0x0
	s_mov_b64 s[16:17], 0x2d9
	s_load_dwordx4 s[12:15], s[12:13], 0x0
	s_waitcnt lgkmcnt(0)
	v_mad_u64_u32 v[80:81], s[2:3], s6, v82, 0
	v_mad_u64_u32 v[4:5], s[2:3], s14, v82, 0
	v_mov_b32_e32 v6, v81
	v_mad_u64_u32 v[108:109], s[2:3], s7, v82, v[6:7]
	v_mov_b32_e32 v6, v5
	v_mad_u64_u32 v[6:7], s[2:3], s15, v82, v[6:7]
	s_movk_i32 s2, 0xf3
	s_nop 0
	v_mul_lo_u16_sdwa v1, v1, s2 dst_sel:DWORD dst_unused:UNUSED_PAD src0_sel:WORD_1 src1_sel:DWORD
	v_sub_u16_e32 v96, v0, v1
	v_mad_u64_u32 v[0:1], s[2:3], s12, v96, 0
	v_mov_b32_e32 v5, v6
	v_mov_b32_e32 v6, v1
	v_mad_u64_u32 v[6:7], s[2:3], s13, v96, v[6:7]
	v_mov_b32_e32 v1, v6
	v_lshl_add_u64 v[2:3], v[4:5], 3, v[2:3]
	v_lshl_add_u64 v[0:1], v[0:1], 3, v[2:3]
	v_mov_b32_e32 v109, 0xf30
	global_load_dwordx2 v[2:3], v[0:1], off
	v_mad_u64_u32 v[0:1], s[2:3], s12, v109, v[0:1]
	s_mul_i32 s6, s13, 0xf30
	v_add_u32_e32 v1, s6, v1
	v_lshlrev_b32_e32 v82, 3, v96
	v_mad_u64_u32 v[4:5], s[2:3], s12, v109, v[0:1]
	v_lshl_add_u64 v[112:113], s[8:9], 0, v[82:83]
	v_add_u32_e32 v5, s6, v5
	s_movk_i32 s14, 0x1000
	global_load_dwordx2 v[110:111], v82, s[8:9]
	global_load_dwordx2 v[106:107], v82, s[8:9] offset:3888
	v_add_co_u32_e32 v6, vcc, s14, v112
	v_mad_u64_u32 v[8:9], s[2:3], s12, v109, v[4:5]
	s_nop 0
	v_addc_co_u32_e32 v7, vcc, 0, v113, vcc
	v_add_u32_e32 v9, s6, v9
	s_movk_i32 s2, 0x2000
	v_add_co_u32_e32 v10, vcc, s2, v112
	v_mad_u64_u32 v[12:13], s[2:3], s12, v109, v[8:9]
	s_nop 0
	v_addc_co_u32_e32 v11, vcc, 0, v113, vcc
	v_add_u32_e32 v13, s6, v13
	s_movk_i32 s2, 0x3000
	global_load_dwordx2 v[100:101], v[6:7], off offset:3680
	global_load_dwordx2 v[94:95], v[10:11], off offset:3472
	global_load_dwordx2 v[14:15], v[0:1], off
	global_load_dwordx2 v[16:17], v[4:5], off
	global_load_dwordx2 v[18:19], v[8:9], off
	global_load_dwordx2 v[20:21], v[12:13], off
	v_add_co_u32_e32 v0, vcc, s2, v112
	v_mad_u64_u32 v[4:5], s[2:3], s12, v109, v[12:13]
	s_nop 0
	v_addc_co_u32_e32 v1, vcc, 0, v113, vcc
	v_add_u32_e32 v5, s6, v5
	s_movk_i32 s2, 0x4000
	global_load_dwordx2 v[8:9], v[4:5], off
	v_add_co_u32_e32 v12, vcc, s2, v112
	v_mad_u64_u32 v[4:5], s[2:3], s12, v119, v[4:5]
	s_mul_i32 s2, s13, 0xffffbba8
	global_load_dwordx2 v[98:99], v[0:1], off offset:3264
	s_sub_i32 s2, s2, s12
	v_addc_co_u32_e32 v13, vcc, 0, v113, vcc
	v_add_u32_e32 v5, s2, v5
	global_load_dwordx2 v[90:91], v[12:13], off offset:3056
	global_load_dwordx2 v[22:23], v[4:5], off
	global_load_dwordx2 v[92:93], v82, s[8:9] offset:1944
	v_mad_u64_u32 v[4:5], s[2:3], s12, v109, v[4:5]
	v_add_u32_e32 v5, s6, v5
	global_load_dwordx2 v[24:25], v[4:5], off
	global_load_dwordx2 v[86:87], v[10:11], off offset:1528
	global_load_dwordx2 v[104:105], v[6:7], off offset:1736
	v_mad_u64_u32 v[4:5], s[2:3], s12, v109, v[4:5]
	v_add_u32_e32 v5, s6, v5
	global_load_dwordx2 v[6:7], v[4:5], off
	v_mad_u64_u32 v[4:5], s[2:3], s12, v109, v[4:5]
	v_add_u32_e32 v5, s6, v5
	global_load_dwordx2 v[10:11], v[4:5], off
	global_load_dwordx2 v[84:85], v[12:13], off offset:1112
	global_load_dwordx2 v[102:103], v[0:1], off offset:1320
	v_mad_u64_u32 v[0:1], s[2:3], s12, v109, v[4:5]
	v_add_u32_e32 v1, s6, v1
	global_load_dwordx2 v[4:5], v[0:1], off
	v_mad_u64_u32 v[0:1], s[2:3], s12, v109, v[0:1]
	s_movk_i32 s2, 0x5000
	s_nop 0
	v_add_co_u32_e32 v126, vcc, s2, v112
	v_add_u32_e32 v1, s6, v1
	s_nop 0
	v_addc_co_u32_e32 v127, vcc, 0, v113, vcc
	global_load_dwordx2 v[0:1], v[0:1], off
	v_add_u32_e32 v125, 0x1e00, v82
	global_load_dwordx2 v[88:89], v[126:127], off offset:904
	v_add_u32_e32 v121, 0x3c80, v82
	v_add_u32_e32 v123, 0x2d80, v82
	;; [unrolled: 1-line block ×4, first 2 shown]
	s_mov_b32 s2, 0x3f5db3d7
	s_mov_b32 s3, 0xbf5db3d7
	s_mov_b32 s8, 0.5
	s_mov_b32 s9, s2
	s_mov_b32 s6, s2
	;; [unrolled: 1-line block ×4, first 2 shown]
	s_waitcnt vmcnt(22)
	v_mul_f32_e32 v12, v3, v111
	v_fmac_f32_e32 v12, v2, v110
	v_mul_f32_e32 v2, v2, v111
	v_fma_f32 v13, v3, v110, -v2
	v_mov_b32_e32 v97, s12
	s_mov_b64 s[12:13], 0xf3
	v_lshl_add_u64 v[64:65], v[96:97], 0, s[12:13]
	s_mov_b32 s12, 0xaaab
	s_mov_b32 s15, 0xe38f
	v_lshl_add_u64 v[74:75], v[96:97], 0, s[16:17]
	s_load_dwordx2 s[0:1], s[0:1], 0x38
	s_waitcnt vmcnt(18)
	v_mul_f32_e32 v2, v15, v107
	v_mul_f32_e32 v3, v14, v107
	v_fmac_f32_e32 v2, v14, v106
	v_fma_f32 v3, v15, v106, -v3
	ds_write_b64 v82, v[2:3] offset:3888
	s_waitcnt vmcnt(17)
	v_mul_f32_e32 v2, v17, v101
	v_mul_f32_e32 v3, v16, v101
	v_fmac_f32_e32 v2, v16, v100
	v_fma_f32 v3, v17, v100, -v3
	ds_write_b64 v82, v[2:3] offset:7776
	;; [unrolled: 6-line block ×5, first 2 shown]
	s_waitcnt vmcnt(10)
	v_mul_f32_e32 v2, v23, v93
	v_mul_f32_e32 v3, v22, v93
	v_fmac_f32_e32 v2, v22, v92
	v_fma_f32 v3, v23, v92, -v3
	ds_write2_b64 v82, v[12:13], v[2:3] offset1:243
	s_waitcnt vmcnt(7)
	v_mul_f32_e32 v2, v25, v105
	v_mul_f32_e32 v3, v24, v105
	v_fmac_f32_e32 v2, v24, v104
	v_fma_f32 v3, v25, v104, -v3
	ds_write_b64 v82, v[2:3] offset:5832
	s_waitcnt vmcnt(6)
	v_mul_f32_e32 v2, v7, v87
	v_mul_f32_e32 v3, v6, v87
	v_fmac_f32_e32 v2, v6, v86
	v_fma_f32 v3, v7, v86, -v3
	ds_write_b64 v82, v[2:3] offset:9720
	;; [unrolled: 6-line block ×4, first 2 shown]
	s_waitcnt vmcnt(0)
	v_mul_f32_e32 v2, v1, v89
	v_fmac_f32_e32 v2, v0, v88
	v_mul_f32_e32 v0, v0, v89
	v_fma_f32 v3, v1, v88, -v0
	ds_write_b64 v82, v[2:3] offset:21384
	s_waitcnt lgkmcnt(0)
	s_barrier
	ds_read2_b64 v[0:3], v82 offset1:243
	ds_read2_b64 v[4:7], v125 offset0:12 offset1:255
	ds_read2_b64 v[8:11], v121 offset0:8 offset1:251
	;; [unrolled: 1-line block ×4, first 2 shown]
	s_waitcnt lgkmcnt(3)
	v_pk_add_f32 v[16:17], v[2:3], v[6:7]
	s_waitcnt lgkmcnt(2)
	v_pk_add_f32 v[24:25], v[16:17], v[10:11]
	v_pk_add_f32 v[16:17], v[0:1], v[4:5]
	;; [unrolled: 1-line block ×4, first 2 shown]
	ds_read2_b64 v[16:19], v123 offset0:2 offset1:245
	v_pk_add_f32 v[4:5], v[4:5], v[8:9] neg_lo:[0,1] neg_hi:[0,1]
	v_pk_fma_f32 v[0:1], v[28:29], 0.5, v[0:1] op_sel_hi:[1,0,1] neg_lo:[1,0,0] neg_hi:[1,0,0]
	v_pk_mul_f32 v[4:5], v[4:5], s[2:3] op_sel_hi:[1,0]
	v_pk_add_f32 v[8:9], v[6:7], v[10:11]
	s_waitcnt lgkmcnt(0)
	v_pk_add_f32 v[32:33], v[16:17], v[20:21]
	v_pk_add_f32 v[30:31], v[12:13], v[16:17]
	v_pk_add_f32 v[16:17], v[16:17], v[20:21] neg_lo:[0,1] neg_hi:[0,1]
	v_pk_add_f32 v[28:29], v[0:1], v[4:5] op_sel:[0,1] op_sel_hi:[1,0]
	v_pk_add_f32 v[0:1], v[0:1], v[4:5] op_sel:[0,1] op_sel_hi:[1,0] neg_lo:[0,1] neg_hi:[0,1]
	v_pk_fma_f32 v[4:5], v[32:33], 0.5, v[12:13] op_sel_hi:[1,0,1] neg_lo:[1,0,0] neg_hi:[1,0,0]
	v_pk_add_f32 v[20:21], v[30:31], v[20:21]
	v_pk_fma_f32 v[12:13], v[16:17], s[2:3], v[4:5] op_sel:[0,0,1] op_sel_hi:[1,0,0]
	v_pk_fma_f32 v[16:17], v[16:17], s[2:3], v[4:5] op_sel:[0,0,1] op_sel_hi:[1,0,0] neg_lo:[1,0,0] neg_hi:[1,0,0]
	v_pk_mul_f32 v[4:5], v[12:13], s[8:9] op_sel:[1,0]
	v_pk_add_f32 v[10:11], v[6:7], v[10:11] neg_lo:[0,1] neg_hi:[0,1]
	v_pk_fma_f32 v[30:31], v[16:17], s[6:7], v[4:5]
	v_pk_fma_f32 v[4:5], v[16:17], s[6:7], v[4:5] op_sel_hi:[0,1,1] neg_lo:[0,0,1] neg_hi:[0,0,1]
	v_pk_add_f32 v[6:7], v[14:15], v[18:19]
	v_mov_b32_e32 v31, v5
	v_mul_lo_u16_e32 v4, 6, v96
	v_mov_b32_e32 v32, v28
	v_mov_b32_e32 v33, v1
	v_pk_add_f32 v[34:35], v[18:19], v[22:23]
	v_pk_add_f32 v[18:19], v[18:19], v[22:23] neg_lo:[0,1] neg_hi:[0,1]
	v_pk_add_f32 v[22:23], v[6:7], v[22:23]
	v_lshlrev_b32_e32 v133, 3, v4
	v_pk_add_f32 v[4:5], v[26:27], v[20:21]
	v_pk_add_f32 v[6:7], v[32:33], v[30:31]
	v_mov_b32_e32 v16, v12
	s_barrier
	ds_write_b128 v133, v[4:7]
	v_pk_mul_f32 v[4:5], v[16:17], 0.5 op_sel_hi:[1,0]
	v_mov_b32_e32 v1, v29
	v_pk_fma_f32 v[12:13], v[16:17], s[2:3], v[4:5] op_sel:[0,0,1] op_sel_hi:[1,1,0] neg_lo:[0,0,1] neg_hi:[0,0,1]
	v_pk_add_f32 v[6:7], v[26:27], v[20:21] neg_lo:[0,1] neg_hi:[0,1]
	v_pk_add_f32 v[4:5], v[0:1], v[12:13]
	ds_write_b128 v133, v[4:7] offset:16
	v_pk_add_f32 v[6:7], v[0:1], v[12:13] neg_lo:[0,1] neg_hi:[0,1]
	v_mul_u32_u24_e32 v0, 6, v64
	v_pk_add_f32 v[4:5], v[32:33], v[30:31] neg_lo:[0,1] neg_hi:[0,1]
	v_lshlrev_b32_e32 v81, 3, v0
	v_pk_fma_f32 v[0:1], v[8:9], 0.5, v[2:3] op_sel_hi:[1,0,1] neg_lo:[1,0,0] neg_hi:[1,0,0]
	v_pk_mul_f32 v[2:3], v[10:11], s[2:3] op_sel_hi:[1,0]
	ds_write_b128 v133, v[4:7] offset:32
	v_pk_add_f32 v[4:5], v[0:1], v[2:3] op_sel:[0,1] op_sel_hi:[1,0]
	v_pk_add_f32 v[8:9], v[0:1], v[2:3] op_sel:[0,1] op_sel_hi:[1,0] neg_lo:[0,1] neg_hi:[0,1]
	v_pk_fma_f32 v[2:3], v[34:35], 0.5, v[14:15] op_sel_hi:[1,0,1] neg_lo:[1,0,0] neg_hi:[1,0,0]
	v_pk_add_f32 v[0:1], v[24:25], v[22:23]
	v_pk_fma_f32 v[6:7], v[18:19], s[2:3], v[2:3] op_sel:[0,0,1] op_sel_hi:[1,0,0]
	v_pk_fma_f32 v[2:3], v[18:19], s[2:3], v[2:3] op_sel:[0,0,1] op_sel_hi:[1,0,0] neg_lo:[1,0,0] neg_hi:[1,0,0]
	v_mov_b32_e32 v10, v6
	v_mov_b32_e32 v11, v3
	v_pk_mul_f32 v[12:13], v[10:11], 0.5 op_sel_hi:[1,0]
	s_nop 0
	v_pk_fma_f32 v[10:11], v[10:11], s[2:3], v[12:13] op_sel:[0,0,1] op_sel_hi:[1,1,0] neg_lo:[0,0,1] neg_hi:[0,0,1]
	v_mov_b32_e32 v12, v4
	v_mov_b32_e32 v13, v9
	;; [unrolled: 1-line block ×3, first 2 shown]
	v_pk_mul_f32 v[4:5], v[6:7], s[8:9] op_sel:[1,0]
	v_pk_add_f32 v[6:7], v[24:25], v[22:23] neg_lo:[0,1] neg_hi:[0,1]
	v_pk_fma_f32 v[14:15], v[2:3], s[6:7], v[4:5]
	v_pk_fma_f32 v[2:3], v[2:3], s[6:7], v[4:5] op_sel_hi:[0,1,1] neg_lo:[0,0,1] neg_hi:[0,0,1]
	v_mov_b32_e32 v15, v3
	v_pk_add_f32 v[2:3], v[12:13], v[14:15]
	ds_write_b128 v81, v[0:3]
	v_pk_add_f32 v[0:1], v[12:13], v[14:15] neg_lo:[0,1] neg_hi:[0,1]
	v_pk_add_f32 v[2:3], v[8:9], v[10:11] neg_lo:[0,1] neg_hi:[0,1]
	ds_write_b128 v81, v[0:3] offset:32
	v_mul_u32_u24_sdwa v0, v64, s12 dst_sel:DWORD dst_unused:UNUSED_PAD src0_sel:WORD_0 src1_sel:DWORD
	v_lshrrev_b32_e32 v60, 18, v0
	v_mul_lo_u16_e32 v0, 6, v60
	v_sub_u16_e32 v61, v64, v0
	v_mul_lo_u16_e32 v0, 40, v61
	v_mov_b32_e32 v1, v83
	v_pk_add_f32 v[4:5], v[8:9], v[10:11]
	v_lshl_add_u64 v[16:17], s[10:11], 0, v[0:1]
	ds_write_b128 v81, v[4:7] offset:16
	s_waitcnt lgkmcnt(0)
	s_barrier
	global_load_dwordx4 v[4:7], v[16:17], off
	s_movk_i32 s12, 0xab
	v_mul_lo_u16_sdwa v0, v96, s12 dst_sel:DWORD dst_unused:UNUSED_PAD src0_sel:BYTE_0 src1_sel:DWORD
	v_lshrrev_b16_e32 v62, 10, v0
	v_mul_lo_u16_e32 v0, 6, v62
	v_sub_u16_e32 v0, v96, v0
	v_and_b32_e32 v63, 0xff, v0
	v_mad_u64_u32 v[18:19], s[12:13], v63, 40, s[10:11]
	global_load_dwordx4 v[0:3], v[18:19], off
	global_load_dwordx4 v[12:15], v[16:17], off offset:16
	global_load_dwordx4 v[8:11], v[18:19], off offset:16
	global_load_dwordx2 v[116:117], v[16:17], off offset:32
	global_load_dwordx2 v[114:115], v[18:19], off offset:32
	ds_read2_b64 v[16:19], v131 offset0:6 offset1:249
	s_mov_b64 s[12:13], 0x1e6
	v_lshl_add_u64 v[72:73], v[96:97], 0, s[12:13]
	s_movk_i32 s12, 0x6c
	s_waitcnt vmcnt(5) lgkmcnt(0)
	v_pk_mul_f32 v[20:21], v[18:19], v[4:5] op_sel_hi:[1,0]
	v_mov_b32_e32 v22, v5
	v_pk_fma_f32 v[24:25], v[18:19], v[22:23], v[20:21] op_sel:[0,0,1] op_sel_hi:[1,1,0]
	v_pk_fma_f32 v[26:27], v[18:19], v[4:5], v[20:21] op_sel:[0,1,1] op_sel_hi:[1,1,0] neg_lo:[1,0,0] neg_hi:[1,0,0]
	ds_read2_b64 v[18:21], v125 offset0:12 offset1:255
	s_waitcnt vmcnt(4)
	v_pk_mul_f32 v[22:23], v[16:17], v[0:1] op_sel:[0,1]
	v_mov_b32_e32 v124, v7
	v_pk_fma_f32 v[28:29], v[16:17], v[0:1], v[22:23] op_sel:[0,0,1] op_sel_hi:[1,1,0] neg_lo:[0,0,1] neg_hi:[0,0,1]
	v_pk_fma_f32 v[30:31], v[16:17], v[0:1], v[22:23] op_sel:[0,0,1] op_sel_hi:[1,0,0]
	s_waitcnt lgkmcnt(0)
	v_pk_mul_f32 v[16:17], v[20:21], v[124:125] op_sel_hi:[1,0]
	v_mov_b32_e32 v120, v3
	v_pk_fma_f32 v[32:33], v[20:21], v[6:7], v[16:17] op_sel:[0,0,1] op_sel_hi:[1,1,0] neg_lo:[0,0,1] neg_hi:[0,0,1]
	v_pk_fma_f32 v[34:35], v[20:21], v[6:7], v[16:17] op_sel:[0,0,1] op_sel_hi:[1,0,0]
	ds_read2_b64 v[20:23], v123 offset0:2 offset1:245
	v_pk_mul_f32 v[16:17], v[18:19], v[120:121] op_sel_hi:[1,0]
	s_waitcnt vmcnt(3)
	v_mov_b32_e32 v122, v15
	v_pk_fma_f32 v[36:37], v[18:19], v[2:3], v[16:17] op_sel:[0,0,1] op_sel_hi:[1,1,0] neg_lo:[0,0,1] neg_hi:[0,0,1]
	v_pk_fma_f32 v[38:39], v[18:19], v[2:3], v[16:17] op_sel:[0,0,1] op_sel_hi:[1,0,0]
	s_waitcnt lgkmcnt(0)
	v_pk_mul_f32 v[16:17], v[22:23], v[12:13] op_sel_hi:[1,0]
	v_mov_b32_e32 v18, v13
	v_pk_fma_f32 v[40:41], v[22:23], v[18:19], v[16:17] op_sel:[0,0,1] op_sel_hi:[1,1,0]
	v_pk_fma_f32 v[22:23], v[22:23], v[12:13], v[16:17] op_sel:[0,1,1] op_sel_hi:[1,1,0] neg_lo:[1,0,0] neg_hi:[1,0,0]
	ds_read2_b64 v[16:19], v121 offset0:8 offset1:251
	s_waitcnt vmcnt(2)
	v_pk_mul_f32 v[42:43], v[20:21], v[8:9] op_sel:[0,1]
	v_mov_b32_e32 v118, v11
	v_pk_fma_f32 v[44:45], v[20:21], v[8:9], v[42:43] op_sel:[0,0,1] op_sel_hi:[1,1,0] neg_lo:[0,0,1] neg_hi:[0,0,1]
	v_pk_fma_f32 v[42:43], v[20:21], v[8:9], v[42:43] op_sel:[0,0,1] op_sel_hi:[1,0,0]
	s_waitcnt lgkmcnt(0)
	v_pk_mul_f32 v[20:21], v[18:19], v[122:123] op_sel_hi:[1,0]
	v_pk_mul_f32 v[50:51], v[16:17], v[118:119] op_sel_hi:[1,0]
	v_pk_fma_f32 v[46:47], v[18:19], v[14:15], v[20:21] op_sel:[0,0,1] op_sel_hi:[1,1,0] neg_lo:[0,0,1] neg_hi:[0,0,1]
	v_pk_fma_f32 v[48:49], v[18:19], v[14:15], v[20:21] op_sel:[0,0,1] op_sel_hi:[1,0,0]
	ds_read2_b64 v[18:21], v129 offset0:6 offset1:249
	v_pk_fma_f32 v[52:53], v[16:17], v[10:11], v[50:51] op_sel:[0,0,1] op_sel_hi:[1,1,0] neg_lo:[0,0,1] neg_hi:[0,0,1]
	v_pk_fma_f32 v[50:51], v[16:17], v[10:11], v[50:51] op_sel:[0,0,1] op_sel_hi:[1,0,0]
	s_waitcnt vmcnt(1)
	v_mov_b32_e32 v22, v117
	v_mov_b32_e32 v37, v39
	s_waitcnt lgkmcnt(0)
	v_pk_mul_f32 v[16:17], v[20:21], v[116:117] op_sel_hi:[1,0]
	v_mov_b32_e32 v53, v51
	v_pk_fma_f32 v[54:55], v[20:21], v[22:23], v[16:17] op_sel:[0,0,1] op_sel_hi:[1,1,0]
	v_pk_fma_f32 v[20:21], v[20:21], v[116:117], v[16:17] op_sel:[0,1,1] op_sel_hi:[1,1,0] neg_lo:[1,0,0] neg_hi:[1,0,0]
	s_waitcnt vmcnt(0)
	v_pk_mul_f32 v[16:17], v[18:19], v[114:115] op_sel:[0,1]
	v_mov_b32_e32 v29, v31
	v_pk_fma_f32 v[56:57], v[18:19], v[114:115], v[16:17] op_sel:[0,0,1] op_sel_hi:[1,1,0] neg_lo:[0,0,1] neg_hi:[0,0,1]
	v_pk_fma_f32 v[58:59], v[18:19], v[114:115], v[16:17] op_sel:[0,0,1] op_sel_hi:[1,0,0]
	ds_read2_b64 v[16:19], v82 offset1:243
	v_pk_add_f32 v[38:39], v[36:37], v[52:53]
	v_mov_b32_e32 v45, v43
	v_mov_b32_e32 v57, v59
	v_pk_add_f32 v[42:43], v[44:45], v[56:57] neg_lo:[0,1] neg_hi:[0,1]
	s_waitcnt lgkmcnt(0)
	v_pk_add_f32 v[30:31], v[16:17], v[36:37]
	v_pk_add_f32 v[36:37], v[36:37], v[52:53] neg_lo:[0,1] neg_hi:[0,1]
	v_pk_fma_f32 v[16:17], v[38:39], 0.5, v[16:17] op_sel_hi:[1,0,1] neg_lo:[1,0,0] neg_hi:[1,0,0]
	v_pk_mul_f32 v[36:37], v[36:37], s[2:3] op_sel_hi:[1,0]
	v_pk_add_f32 v[30:31], v[30:31], v[52:53]
	v_pk_add_f32 v[38:39], v[36:37], v[16:17] op_sel:[1,0] op_sel_hi:[0,1]
	v_pk_add_f32 v[16:17], v[16:17], v[36:37] op_sel:[0,1] op_sel_hi:[1,0] neg_lo:[0,1] neg_hi:[0,1]
	v_pk_add_f32 v[36:37], v[44:45], v[56:57]
	v_mul_u32_u24_e32 v7, 36, v62
	v_pk_fma_f32 v[36:37], v[36:37], 0.5, v[28:29] op_sel_hi:[1,0,1] neg_lo:[1,0,0] neg_hi:[1,0,0]
	v_pk_add_f32 v[28:29], v[28:29], v[44:45]
	v_pk_fma_f32 v[44:45], v[42:43], s[2:3], v[36:37] op_sel:[0,0,1] op_sel_hi:[1,0,0]
	v_pk_fma_f32 v[36:37], v[42:43], s[2:3], v[36:37] op_sel:[0,0,1] op_sel_hi:[1,0,0] neg_lo:[1,0,0] neg_hi:[1,0,0]
	v_mul_f32_e32 v22, 0xbf5db3d7, v45
	v_mul_f32_e32 v20, 0x3f5db3d7, v36
	v_pk_add_f32 v[28:29], v[28:29], v[56:57]
	v_fmac_f32_e32 v20, 0.5, v45
	v_fmac_f32_e32 v22, 0.5, v36
	v_add_lshl_u32 v7, v7, v63, 3
	v_add_f32_e32 v42, v38, v20
	v_add_f32_e32 v43, v17, v22
	v_pk_add_f32 v[50:51], v[30:31], v[28:29]
	v_mov_b32_e32 v36, v44
	s_barrier
	ds_write2_b64 v7, v[50:51], v[42:43] offset1:6
	v_pk_mul_f32 v[42:43], v[36:37], 0.5 op_sel_hi:[1,0]
	v_pk_add_f32 v[28:29], v[30:31], v[28:29] neg_lo:[0,1] neg_hi:[0,1]
	v_pk_fma_f32 v[36:37], v[36:37], s[2:3], v[42:43] op_sel:[0,0,1] op_sel_hi:[1,1,0] neg_lo:[0,0,1] neg_hi:[0,0,1]
	v_mov_b32_e32 v30, v16
	v_mov_b32_e32 v31, v39
	v_pk_add_f32 v[42:43], v[30:31], v[36:37]
	ds_write2_b64 v7, v[42:43], v[28:29] offset0:12 offset1:18
	v_sub_f32_e32 v16, v38, v20
	v_sub_f32_e32 v17, v17, v22
	v_pk_add_f32 v[28:29], v[30:31], v[36:37] neg_lo:[0,1] neg_hi:[0,1]
	v_mov_b32_e32 v33, v35
	v_mov_b32_e32 v47, v49
	ds_write2_b64 v7, v[16:17], v[28:29] offset0:24 offset1:30
	v_mov_b32_e32 v55, v21
	v_pk_add_f32 v[16:17], v[32:33], v[46:47]
	v_pk_add_f32 v[20:21], v[32:33], v[46:47] neg_lo:[0,1] neg_hi:[0,1]
	v_mov_b32_e32 v41, v23
	v_pk_fma_f32 v[16:17], v[16:17], 0.5, v[18:19] op_sel_hi:[1,0,1] neg_lo:[1,0,0] neg_hi:[1,0,0]
	v_pk_mul_f32 v[20:21], v[20:21], s[2:3] op_sel_hi:[1,0]
	v_mov_b32_e32 v25, v27
	v_pk_add_f32 v[22:23], v[20:21], v[16:17] op_sel:[1,0] op_sel_hi:[0,1]
	v_pk_add_f32 v[16:17], v[16:17], v[20:21] op_sel:[0,1] op_sel_hi:[1,0] neg_lo:[0,1] neg_hi:[0,1]
	v_pk_add_f32 v[20:21], v[40:41], v[54:55]
	v_pk_add_f32 v[26:27], v[40:41], v[54:55] neg_lo:[0,1] neg_hi:[0,1]
	v_pk_fma_f32 v[20:21], v[20:21], 0.5, v[24:25] op_sel_hi:[1,0,1] neg_lo:[1,0,0] neg_hi:[1,0,0]
	v_pk_mul_f32 v[26:27], v[26:27], s[2:3] op_sel_hi:[1,0]
	v_pk_add_f32 v[18:19], v[18:19], v[32:33]
	v_pk_add_f32 v[28:29], v[26:27], v[20:21] op_sel:[1,0] op_sel_hi:[0,1]
	v_pk_add_f32 v[20:21], v[20:21], v[26:27] op_sel:[0,1] op_sel_hi:[1,0] neg_lo:[0,1] neg_hi:[0,1]
	v_pk_add_f32 v[24:25], v[24:25], v[40:41]
	v_mul_f32_e32 v32, 0x3f5db3d7, v20
	v_fmac_f32_e32 v32, 0.5, v29
	v_mul_f32_e32 v29, 0xbf5db3d7, v29
	v_pk_add_f32 v[18:19], v[18:19], v[46:47]
	v_pk_add_f32 v[24:25], v[24:25], v[54:55]
	v_mad_legacy_u16 v26, v60, 36, v61
	v_fmac_f32_e32 v29, 0.5, v20
	v_lshlrev_b32_e32 v135, 3, v26
	v_add_f32_e32 v26, v22, v32
	v_add_f32_e32 v27, v17, v29
	v_pk_add_f32 v[30:31], v[18:19], v[24:25] op_sel:[0,1] op_sel_hi:[1,0]
	v_mov_b32_e32 v20, v28
	ds_write2_b64 v135, v[30:31], v[26:27] offset1:6
	v_pk_mul_f32 v[26:27], v[20:21], 0.5 op_sel_hi:[1,0]
	v_pk_add_f32 v[18:19], v[18:19], v[24:25] op_sel:[0,1] op_sel_hi:[1,0] neg_lo:[0,1] neg_hi:[0,1]
	v_pk_fma_f32 v[20:21], v[20:21], s[2:3], v[26:27] op_sel:[0,0,1] op_sel_hi:[1,1,0] neg_lo:[0,0,1] neg_hi:[0,0,1]
	v_mov_b32_e32 v24, v16
	v_mov_b32_e32 v25, v23
	v_pk_add_f32 v[26:27], v[24:25], v[20:21]
	ds_write2_b64 v135, v[26:27], v[18:19] offset0:12 offset1:18
	v_sub_f32_e32 v16, v22, v32
	v_sub_f32_e32 v17, v17, v29
	v_pk_add_f32 v[18:19], v[24:25], v[20:21] neg_lo:[0,1] neg_hi:[0,1]
	ds_write2_b64 v135, v[16:17], v[18:19] offset0:24 offset1:30
	v_mul_u32_u24_sdwa v16, v72, s15 dst_sel:DWORD dst_unused:UNUSED_PAD src0_sel:WORD_0 src1_sel:DWORD
	v_lshrrev_b32_e32 v73, 21, v16
	v_mul_lo_u16_e32 v16, 36, v73
	v_sub_u16_e32 v76, v72, v16
	v_mul_u32_u24_sdwa v16, v74, s15 dst_sel:DWORD dst_unused:UNUSED_PAD src0_sel:WORD_0 src1_sel:DWORD
	v_lshrrev_b32_e32 v75, 21, v16
	v_mov_b32_e32 v24, 57
	v_mul_lo_u16_e32 v16, 36, v75
	v_mul_lo_u16_sdwa v24, v96, v24 dst_sel:DWORD dst_unused:UNUSED_PAD src0_sel:BYTE_0 src1_sel:DWORD
	v_sub_u16_e32 v77, v74, v16
	v_lshrrev_b16_e32 v78, 11, v24
	v_mul_u32_u24_sdwa v24, v64, s15 dst_sel:DWORD dst_unused:UNUSED_PAD src0_sel:WORD_0 src1_sel:DWORD
	v_lshlrev_b16_e32 v16, 4, v77
	v_mov_b32_e32 v17, v83
	v_lshrrev_b32_e32 v79, 21, v24
	v_lshl_add_u64 v[16:17], s[10:11], 0, v[16:17]
	v_mul_lo_u16_e32 v24, 36, v79
	s_waitcnt lgkmcnt(0)
	s_barrier
	global_load_dwordx4 v[20:23], v[16:17], off offset:240
	v_sub_u16_e32 v136, v64, v24
	v_lshlrev_b16_e32 v24, 4, v136
	v_mov_b32_e32 v25, v83
	v_lshl_add_u64 v[24:25], s[10:11], 0, v[24:25]
	global_load_dwordx4 v[28:31], v[24:25], off offset:240
	v_lshlrev_b16_e32 v16, 4, v76
	v_mov_b32_e32 v17, v83
	v_lshl_add_u64 v[16:17], s[10:11], 0, v[16:17]
	global_load_dwordx4 v[16:19], v[16:17], off offset:240
	v_mul_lo_u16_e32 v26, 36, v78
	v_sub_u16_e32 v24, v96, v26
	v_and_b32_e32 v137, 0xff, v24
	v_lshlrev_b32_e32 v24, 4, v137
	global_load_dwordx4 v[24:27], v24, s[10:11] offset:240
	ds_read2_b64 v[32:35], v123 offset0:2 offset1:245
	s_movk_i32 s15, 0x51
	v_cmp_gt_u16_e32 vcc, s15, v96
	s_waitcnt vmcnt(3) lgkmcnt(0)
	v_pk_mul_f32 v[36:37], v[34:35], v[20:21] op_sel:[0,1]
	s_nop 0
	v_pk_fma_f32 v[40:41], v[34:35], v[20:21], v[36:37] op_sel:[0,0,1] op_sel_hi:[1,1,0] neg_lo:[0,0,1] neg_hi:[0,0,1]
	v_pk_fma_f32 v[42:43], v[34:35], v[20:21], v[36:37] op_sel:[0,0,1] op_sel_hi:[1,0,0]
	ds_read2_b64 v[34:37], v129 offset0:6 offset1:249
	v_mov_b32_e32 v134, v23
	s_waitcnt vmcnt(2)
	v_mov_b32_e32 v132, v31
	v_mov_b32_e32 v41, v43
	;; [unrolled: 1-line block ×3, first 2 shown]
	v_mul_lo_u16_sdwa v42, v96, v42 dst_sel:DWORD dst_unused:UNUSED_PAD src0_sel:BYTE_0 src1_sel:DWORD
	s_waitcnt vmcnt(1)
	v_pk_mul_f32 v[38:39], v[32:33], v[16:17] op_sel:[0,1]
	v_mov_b32_e32 v128, v19
	v_pk_fma_f32 v[44:45], v[32:33], v[16:17], v[38:39] op_sel:[0,0,1] op_sel_hi:[1,1,0] neg_lo:[0,0,1] neg_hi:[0,0,1]
	v_pk_fma_f32 v[46:47], v[32:33], v[16:17], v[38:39] op_sel:[0,0,1] op_sel_hi:[1,0,0]
	s_waitcnt lgkmcnt(0)
	v_pk_mul_f32 v[32:33], v[36:37], v[134:135] op_sel_hi:[1,0]
	s_waitcnt vmcnt(0)
	v_mov_b32_e32 v130, v27
	v_pk_fma_f32 v[48:49], v[36:37], v[22:23], v[32:33] op_sel:[0,0,1] op_sel_hi:[1,1,0] neg_lo:[0,0,1] neg_hi:[0,0,1]
	v_pk_fma_f32 v[50:51], v[36:37], v[22:23], v[32:33] op_sel:[0,0,1] op_sel_hi:[1,0,0]
	ds_read2_b64 v[36:39], v125 offset0:12 offset1:255
	v_pk_mul_f32 v[32:33], v[34:35], v[128:129] op_sel_hi:[1,0]
	v_mad_legacy_u16 v23, v79, s12, v136
	v_pk_fma_f32 v[52:53], v[34:35], v[18:19], v[32:33] op_sel:[0,0,1] op_sel_hi:[1,1,0] neg_lo:[0,0,1] neg_hi:[0,0,1]
	v_pk_fma_f32 v[54:55], v[34:35], v[18:19], v[32:33] op_sel:[0,0,1] op_sel_hi:[1,0,0]
	s_waitcnt lgkmcnt(0)
	v_pk_mul_f32 v[32:33], v[38:39], v[28:29] op_sel:[0,1]
	v_pk_mul_f32 v[58:59], v[36:37], v[24:25] op_sel:[0,1]
	v_pk_fma_f32 v[56:57], v[38:39], v[28:29], v[32:33] op_sel:[0,0,1] op_sel_hi:[1,1,0] neg_lo:[0,0,1] neg_hi:[0,0,1]
	v_pk_fma_f32 v[38:39], v[38:39], v[28:29], v[32:33] op_sel:[0,0,1] op_sel_hi:[1,0,0]
	ds_read2_b64 v[32:35], v121 offset0:8 offset1:251
	v_pk_fma_f32 v[60:61], v[36:37], v[24:25], v[58:59] op_sel:[0,0,1] op_sel_hi:[1,1,0] neg_lo:[0,0,1] neg_hi:[0,0,1]
	v_pk_fma_f32 v[58:59], v[36:37], v[24:25], v[58:59] op_sel:[0,0,1] op_sel_hi:[1,0,0]
	v_mov_b32_e32 v57, v39
	v_mov_b32_e32 v61, v59
	s_waitcnt lgkmcnt(0)
	v_pk_mul_f32 v[36:37], v[34:35], v[132:133] op_sel_hi:[1,0]
	v_pk_mul_f32 v[68:69], v[32:33], v[130:131] op_sel_hi:[1,0]
	v_pk_fma_f32 v[62:63], v[34:35], v[30:31], v[36:37] op_sel:[0,0,1] op_sel_hi:[1,1,0] neg_lo:[0,0,1] neg_hi:[0,0,1]
	v_pk_fma_f32 v[66:67], v[34:35], v[30:31], v[36:37] op_sel:[0,0,1] op_sel_hi:[1,0,0]
	ds_read2_b64 v[34:37], v82 offset1:243
	v_pk_fma_f32 v[70:71], v[32:33], v[26:27], v[68:69] op_sel:[0,0,1] op_sel_hi:[1,1,0] neg_lo:[0,0,1] neg_hi:[0,0,1]
	v_pk_fma_f32 v[32:33], v[32:33], v[26:27], v[68:69] op_sel:[0,0,1] op_sel_hi:[1,0,0]
	v_mov_b32_e32 v63, v67
	v_mov_b32_e32 v71, v33
	s_waitcnt lgkmcnt(0)
	v_pk_add_f32 v[32:33], v[34:35], v[60:61]
	v_pk_add_f32 v[38:39], v[56:57], v[62:63]
	;; [unrolled: 1-line block ×4, first 2 shown]
	v_pk_add_f32 v[60:61], v[60:61], v[70:71] neg_lo:[0,1] neg_hi:[0,1]
	v_pk_fma_f32 v[32:33], v[32:33], 0.5, v[34:35] op_sel_hi:[1,0,1] neg_lo:[1,0,0] neg_hi:[1,0,0]
	v_pk_mul_f32 v[34:35], v[60:61], s[2:3] op_sel_hi:[1,0]
	v_mul_u32_u24_e32 v19, 0x6c, v78
	v_pk_add_f32 v[60:61], v[32:33], v[34:35] op_sel:[0,1] op_sel_hi:[1,0]
	v_pk_add_f32 v[68:69], v[32:33], v[34:35] op_sel:[0,1] op_sel_hi:[1,0] neg_lo:[0,1] neg_hi:[0,1]
	ds_read2_b64 v[32:35], v131 offset0:6 offset1:249
	v_pk_fma_f32 v[38:39], v[38:39], 0.5, v[36:37] op_sel_hi:[1,0,1] neg_lo:[1,0,0] neg_hi:[1,0,0]
	v_pk_add_f32 v[36:37], v[36:37], v[56:57]
	v_pk_add_f32 v[56:57], v[56:57], v[62:63] neg_lo:[0,1] neg_hi:[0,1]
	v_add_lshl_u32 v19, v19, v137, 3
	v_mov_b32_e32 v70, v60
	v_mov_b32_e32 v71, v69
	v_pk_mul_f32 v[56:57], v[56:57], s[2:3] op_sel_hi:[1,0]
	s_waitcnt lgkmcnt(0)
	s_barrier
	ds_write2_b64 v19, v[58:59], v[70:71] offset1:36
	v_pk_add_f32 v[58:59], v[38:39], v[56:57] op_sel:[0,1] op_sel_hi:[1,0] neg_lo:[0,1] neg_hi:[0,1]
	v_pk_add_f32 v[38:39], v[38:39], v[56:57] op_sel:[0,1] op_sel_hi:[1,0]
	v_mov_b32_e32 v69, v61
	v_pk_add_f32 v[36:37], v[36:37], v[62:63]
	v_lshlrev_b32_e32 v23, 3, v23
	v_mov_b32_e32 v56, v38
	v_mov_b32_e32 v57, v59
	;; [unrolled: 1-line block ×4, first 2 shown]
	ds_write_b64 v19, v[68:69] offset:576
	ds_write2_b64 v23, v[36:37], v[56:57] offset1:36
	v_pk_add_f32 v[36:37], v[44:45], v[52:53]
	v_pk_add_f32 v[46:47], v[44:45], v[52:53] neg_lo:[0,1] neg_hi:[0,1]
	v_pk_fma_f32 v[36:37], v[36:37], 0.5, v[32:33] op_sel_hi:[1,0,1] neg_lo:[1,0,0] neg_hi:[1,0,0]
	v_pk_mul_f32 v[46:47], v[46:47], s[2:3] op_sel_hi:[1,0]
	v_pk_add_f32 v[32:33], v[32:33], v[44:45]
	v_pk_add_f32 v[54:55], v[36:37], v[46:47] op_sel:[0,1] op_sel_hi:[1,0] neg_lo:[0,1] neg_hi:[0,1]
	v_pk_add_f32 v[36:37], v[36:37], v[46:47] op_sel:[0,1] op_sel_hi:[1,0]
	v_mad_legacy_u16 v27, v73, s12, v76
	v_mov_b32_e32 v59, v39
	v_pk_add_f32 v[32:33], v[32:33], v[52:53]
	v_lshlrev_b32_e32 v27, 3, v27
	v_mov_b32_e32 v38, v36
	v_mov_b32_e32 v39, v55
	;; [unrolled: 1-line block ×3, first 2 shown]
	ds_write_b64 v23, v[58:59] offset:576
	ds_write2_b64 v27, v[32:33], v[38:39] offset1:36
	v_pk_add_f32 v[32:33], v[40:41], v[48:49]
	v_pk_add_f32 v[38:39], v[40:41], v[48:49] neg_lo:[0,1] neg_hi:[0,1]
	v_pk_fma_f32 v[32:33], v[32:33], 0.5, v[34:35] op_sel_hi:[1,0,1] neg_lo:[1,0,0] neg_hi:[1,0,0]
	v_pk_mul_f32 v[38:39], v[38:39], s[2:3] op_sel_hi:[1,0]
	v_pk_add_f32 v[34:35], v[34:35], v[40:41]
	v_pk_add_f32 v[40:41], v[32:33], v[38:39] op_sel:[0,1] op_sel_hi:[1,0] neg_lo:[0,1] neg_hi:[0,1]
	v_pk_add_f32 v[32:33], v[32:33], v[38:39] op_sel:[0,1] op_sel_hi:[1,0]
	v_mad_legacy_u16 v31, v75, s12, v77
	v_mov_b32_e32 v36, v32
	v_lshrrev_b16_e32 v32, 2, v72
	v_mul_u32_u24_e32 v32, 0x4bdb, v32
	v_lshrrev_b32_e32 v73, 19, v32
	v_mul_lo_u16_e32 v32, 0x6c, v73
	v_sub_u16_e32 v75, v72, v32
	v_lshrrev_b16_e32 v32, 2, v74
	v_mul_u32_u24_e32 v32, 0x4bdb, v32
	v_lshrrev_b32_e32 v137, 19, v32
	v_mov_b32_e32 v55, v37
	v_lshlrev_b32_e32 v31, 3, v31
	v_mov_b32_e32 v37, v41
	v_mov_b32_e32 v41, v33
	v_mul_lo_u16_e32 v32, 0x6c, v137
	ds_write_b64 v27, v[54:55] offset:576
	ds_write_b64 v31, v[40:41] offset:576
	v_sub_u16_e32 v141, v74, v32
	v_lshrrev_b16_e32 v40, 2, v64
	v_lshlrev_b16_e32 v32, 4, v141
	v_mov_b32_e32 v33, v83
	v_mul_u32_u24_e32 v40, 0x4bdb, v40
	v_pk_add_f32 v[34:35], v[34:35], v[48:49]
	v_lshl_add_u64 v[32:33], s[10:11], 0, v[32:33]
	v_lshrrev_b32_e32 v143, 19, v40
	ds_write2_b64 v31, v[34:35], v[36:37] offset1:36
	s_waitcnt lgkmcnt(0)
	s_barrier
	global_load_dwordx4 v[36:39], v[32:33], off offset:816
	v_mul_lo_u16_e32 v40, 0x6c, v143
	v_sub_u16_e32 v156, v64, v40
	v_lshlrev_b16_e32 v40, 4, v156
	v_mov_b32_e32 v41, v83
	v_lshlrev_b16_e32 v34, 4, v75
	v_mov_b32_e32 v35, v83
	v_lshl_add_u64 v[40:41], s[10:11], 0, v[40:41]
	global_load_dwordx4 v[44:47], v[40:41], off offset:816
	v_lshl_add_u64 v[32:33], s[10:11], 0, v[34:35]
	global_load_dwordx4 v[32:35], v[32:33], off offset:816
	v_lshrrev_b16_e32 v154, 11, v42
	v_mul_lo_u16_e32 v42, 0x6c, v154
	v_sub_u16_e32 v40, v96, v42
	v_and_b32_e32 v155, 0xff, v40
	v_lshlrev_b32_e32 v40, 4, v155
	global_load_dwordx4 v[40:43], v40, s[10:11] offset:816
	ds_read2_b64 v[48:51], v123 offset0:2 offset1:245
	s_movk_i32 s12, 0x144
	s_waitcnt vmcnt(3) lgkmcnt(0)
	v_pk_mul_f32 v[52:53], v[50:51], v[36:37] op_sel:[0,1]
	s_nop 0
	v_pk_fma_f32 v[56:57], v[50:51], v[36:37], v[52:53] op_sel:[0,0,1] op_sel_hi:[1,1,0] neg_lo:[0,0,1] neg_hi:[0,0,1]
	v_pk_fma_f32 v[58:59], v[50:51], v[36:37], v[52:53] op_sel:[0,0,1] op_sel_hi:[1,0,0]
	ds_read2_b64 v[50:53], v129 offset0:6 offset1:249
	v_mov_b32_e32 v142, v39
	v_mov_b32_e32 v57, v59
	s_waitcnt vmcnt(2)
	v_mov_b32_e32 v140, v47
	s_waitcnt vmcnt(1)
	v_pk_mul_f32 v[54:55], v[48:49], v[32:33] op_sel:[0,1]
	s_nop 0
	v_pk_fma_f32 v[60:61], v[48:49], v[32:33], v[54:55] op_sel:[0,0,1] op_sel_hi:[1,1,0] neg_lo:[0,0,1] neg_hi:[0,0,1]
	v_pk_fma_f32 v[62:63], v[48:49], v[32:33], v[54:55] op_sel:[0,0,1] op_sel_hi:[1,0,0]
	s_waitcnt lgkmcnt(0)
	v_pk_mul_f32 v[48:49], v[52:53], v[142:143] op_sel_hi:[1,0]
	v_mov_b32_e32 v136, v35
	v_pk_fma_f32 v[66:67], v[52:53], v[38:39], v[48:49] op_sel:[0,0,1] op_sel_hi:[1,1,0] neg_lo:[0,0,1] neg_hi:[0,0,1]
	v_pk_fma_f32 v[68:69], v[52:53], v[38:39], v[48:49] op_sel:[0,0,1] op_sel_hi:[1,0,0]
	ds_read2_b64 v[52:55], v125 offset0:12 offset1:255
	v_pk_mul_f32 v[48:49], v[50:51], v[136:137] op_sel_hi:[1,0]
	v_mad_legacy_u16 v39, v143, s12, v156
	v_pk_fma_f32 v[70:71], v[50:51], v[34:35], v[48:49] op_sel:[0,0,1] op_sel_hi:[1,1,0] neg_lo:[0,0,1] neg_hi:[0,0,1]
	v_pk_fma_f32 v[76:77], v[50:51], v[34:35], v[48:49] op_sel:[0,0,1] op_sel_hi:[1,0,0]
	s_waitcnt lgkmcnt(0)
	v_pk_mul_f32 v[48:49], v[54:55], v[44:45] op_sel:[0,1]
	s_waitcnt vmcnt(0)
	v_pk_mul_f32 v[138:139], v[52:53], v[40:41] op_sel:[0,1]
	v_pk_fma_f32 v[78:79], v[54:55], v[44:45], v[48:49] op_sel:[0,0,1] op_sel_hi:[1,1,0] neg_lo:[0,0,1] neg_hi:[0,0,1]
	v_pk_fma_f32 v[54:55], v[54:55], v[44:45], v[48:49] op_sel:[0,0,1] op_sel_hi:[1,0,0]
	ds_read2_b64 v[48:51], v121 offset0:8 offset1:251
	v_pk_fma_f32 v[144:145], v[52:53], v[40:41], v[138:139] op_sel:[0,0,1] op_sel_hi:[1,1,0] neg_lo:[0,0,1] neg_hi:[0,0,1]
	v_pk_fma_f32 v[138:139], v[52:53], v[40:41], v[138:139] op_sel:[0,0,1] op_sel_hi:[1,0,0]
	v_mov_b32_e32 v79, v55
	v_mov_b32_e32 v138, v43
	s_waitcnt lgkmcnt(0)
	v_pk_mul_f32 v[52:53], v[50:51], v[140:141] op_sel_hi:[1,0]
	v_pk_mul_f32 v[150:151], v[48:49], v[138:139] op_sel_hi:[1,0]
	v_pk_fma_f32 v[146:147], v[50:51], v[46:47], v[52:53] op_sel:[0,0,1] op_sel_hi:[1,1,0] neg_lo:[0,0,1] neg_hi:[0,0,1]
	v_pk_fma_f32 v[148:149], v[50:51], v[46:47], v[52:53] op_sel:[0,0,1] op_sel_hi:[1,0,0]
	ds_read2_b64 v[50:53], v82 offset1:243
	v_pk_fma_f32 v[152:153], v[48:49], v[42:43], v[150:151] op_sel:[0,0,1] op_sel_hi:[1,1,0] neg_lo:[0,0,1] neg_hi:[0,0,1]
	v_pk_fma_f32 v[48:49], v[48:49], v[42:43], v[150:151] op_sel:[0,0,1] op_sel_hi:[1,0,0]
	v_mov_b32_e32 v145, v139
	v_mov_b32_e32 v153, v49
	s_waitcnt lgkmcnt(0)
	v_pk_add_f32 v[48:49], v[50:51], v[144:145]
	v_mov_b32_e32 v147, v149
	v_pk_add_f32 v[150:151], v[48:49], v[152:153]
	v_pk_add_f32 v[48:49], v[144:145], v[152:153]
	v_pk_add_f32 v[144:145], v[144:145], v[152:153] neg_lo:[0,1] neg_hi:[0,1]
	v_pk_fma_f32 v[48:49], v[48:49], 0.5, v[50:51] op_sel_hi:[1,0,1] neg_lo:[1,0,0] neg_hi:[1,0,0]
	v_pk_mul_f32 v[50:51], v[144:145], s[2:3] op_sel_hi:[1,0]
	v_pk_add_f32 v[54:55], v[78:79], v[146:147]
	v_pk_add_f32 v[144:145], v[48:49], v[50:51] op_sel:[0,1] op_sel_hi:[1,0]
	v_pk_add_f32 v[152:153], v[48:49], v[50:51] op_sel:[0,1] op_sel_hi:[1,0] neg_lo:[0,1] neg_hi:[0,1]
	ds_read2_b64 v[48:51], v131 offset0:6 offset1:249
	v_pk_fma_f32 v[54:55], v[54:55], 0.5, v[52:53] op_sel_hi:[1,0,1] neg_lo:[1,0,0] neg_hi:[1,0,0]
	v_pk_add_f32 v[52:53], v[52:53], v[78:79]
	v_pk_add_f32 v[78:79], v[78:79], v[146:147] neg_lo:[0,1] neg_hi:[0,1]
	v_mul_u32_u24_e32 v35, 0x144, v154
	v_pk_mul_f32 v[78:79], v[78:79], s[2:3] op_sel_hi:[1,0]
	v_add_lshl_u32 v35, v35, v155, 3
	v_pk_add_f32 v[148:149], v[54:55], v[78:79] op_sel:[0,1] op_sel_hi:[1,0] neg_lo:[0,1] neg_hi:[0,1]
	v_pk_add_f32 v[54:55], v[54:55], v[78:79] op_sel:[0,1] op_sel_hi:[1,0]
	v_mov_b32_e32 v154, v144
	v_mov_b32_e32 v155, v153
	;; [unrolled: 1-line block ×3, first 2 shown]
	v_pk_add_f32 v[52:53], v[52:53], v[146:147]
	v_lshlrev_b32_e32 v39, 3, v39
	v_mov_b32_e32 v78, v54
	v_mov_b32_e32 v79, v149
	;; [unrolled: 1-line block ×4, first 2 shown]
	s_waitcnt lgkmcnt(0)
	s_barrier
	ds_write2_b64 v35, v[150:151], v[154:155] offset1:108
	ds_write_b64 v35, v[152:153] offset:1728
	ds_write2_b64 v39, v[52:53], v[78:79] offset1:108
	v_pk_add_f32 v[52:53], v[60:61], v[70:71]
	v_pk_add_f32 v[62:63], v[60:61], v[70:71] neg_lo:[0,1] neg_hi:[0,1]
	v_pk_fma_f32 v[52:53], v[52:53], 0.5, v[48:49] op_sel_hi:[1,0,1] neg_lo:[1,0,0] neg_hi:[1,0,0]
	v_pk_mul_f32 v[62:63], v[62:63], s[2:3] op_sel_hi:[1,0]
	v_pk_add_f32 v[48:49], v[48:49], v[60:61]
	v_pk_add_f32 v[76:77], v[52:53], v[62:63] op_sel:[0,1] op_sel_hi:[1,0] neg_lo:[0,1] neg_hi:[0,1]
	v_pk_add_f32 v[52:53], v[52:53], v[62:63] op_sel:[0,1] op_sel_hi:[1,0]
	v_mad_legacy_u16 v43, v73, s12, v75
	v_mov_b32_e32 v149, v55
	v_pk_add_f32 v[48:49], v[48:49], v[70:71]
	v_lshlrev_b32_e32 v43, 3, v43
	v_mov_b32_e32 v54, v52
	v_mov_b32_e32 v55, v77
	v_mov_b32_e32 v67, v69
	ds_write_b64 v39, v[148:149] offset:1728
	ds_write2_b64 v43, v[48:49], v[54:55] offset1:108
	v_pk_add_f32 v[48:49], v[56:57], v[66:67]
	v_pk_add_f32 v[54:55], v[56:57], v[66:67] neg_lo:[0,1] neg_hi:[0,1]
	v_pk_fma_f32 v[48:49], v[48:49], 0.5, v[50:51] op_sel_hi:[1,0,1] neg_lo:[1,0,0] neg_hi:[1,0,0]
	v_pk_mul_f32 v[54:55], v[54:55], s[2:3] op_sel_hi:[1,0]
	v_pk_add_f32 v[50:51], v[50:51], v[56:57]
	v_pk_add_f32 v[56:57], v[48:49], v[54:55] op_sel:[0,1] op_sel_hi:[1,0] neg_lo:[0,1] neg_hi:[0,1]
	v_pk_add_f32 v[48:49], v[48:49], v[54:55] op_sel:[0,1] op_sel_hi:[1,0]
	v_mad_legacy_u16 v47, v137, s12, v141
	s_movk_i32 s12, 0x6523
	v_mov_b32_e32 v52, v48
	v_mul_u32_u24_sdwa v48, v72, s12 dst_sel:DWORD dst_unused:UNUSED_PAD src0_sel:WORD_0 src1_sel:DWORD
	v_lshrrev_b32_e32 v73, 23, v48
	v_mul_lo_u16_e32 v48, 0x144, v73
	v_sub_u16_e32 v75, v72, v48
	v_mul_u32_u24_sdwa v48, v74, s12 dst_sel:DWORD dst_unused:UNUSED_PAD src0_sel:WORD_0 src1_sel:DWORD
	v_lshrrev_b32_e32 v48, 23, v48
	v_mul_lo_u16_e32 v48, 0x144, v48
	v_sub_u16_e32 v137, v74, v48
	v_mov_b32_e32 v77, v53
	v_mov_b32_e32 v53, v57
	;; [unrolled: 1-line block ×3, first 2 shown]
	v_lshlrev_b16_e32 v48, 4, v137
	v_mov_b32_e32 v49, v83
	v_pk_add_f32 v[50:51], v[50:51], v[66:67]
	v_lshlrev_b32_e32 v47, 3, v47
	v_lshl_add_u64 v[48:49], s[10:11], 0, v[48:49]
	ds_write_b64 v43, v[76:77] offset:1728
	ds_write2_b64 v47, v[50:51], v[52:53] offset1:108
	ds_write_b64 v47, v[56:57] offset:1728
	s_waitcnt lgkmcnt(0)
	s_barrier
	global_load_dwordx4 v[48:51], v[48:49], off offset:2544
	v_lshlrev_b16_e32 v52, 4, v75
	v_mov_b32_e32 v53, v83
	v_lshl_add_u64 v[52:53], s[10:11], 0, v[52:53]
	global_load_dwordx4 v[52:55], v[52:53], off offset:2544
	v_lshlrev_b32_e32 v152, 4, v96
	s_movk_i32 s12, 0xffaf
	global_load_dwordx4 v[60:63], v152, s[10:11] offset:2544
	s_mov_b32 s13, -1
	v_lshl_add_u64 v[56:57], v[96:97], 0, s[12:13]
	v_cndmask_b32_e32 v155, v57, v65, vcc
	v_cndmask_b32_e32 v154, v56, v64, vcc
	v_lshl_add_u64 v[56:57], v[154:155], 4, s[10:11]
	global_load_dwordx4 v[56:59], v[56:57], off offset:2544
	ds_read2_b64 v[66:69], v123 offset0:2 offset1:245
	s_movk_i32 s12, 0x50
	v_cmp_lt_u16_e32 vcc, s12, v96
	s_movk_i32 s12, 0x3cc
	v_mov_b32_e32 v153, v83
	v_lshlrev_b32_e32 v64, 4, v64
	v_mov_b32_e32 v65, v83
	v_lshlrev_b32_e32 v72, 4, v72
	v_lshlrev_b32_e32 v74, 4, v74
	s_waitcnt vmcnt(3) lgkmcnt(0)
	v_pk_mul_f32 v[70:71], v[68:69], v[48:49] op_sel:[0,1]
	s_nop 0
	v_pk_fma_f32 v[156:157], v[68:69], v[48:49], v[70:71] op_sel:[0,0,1] op_sel_hi:[1,1,0] neg_lo:[0,0,1] neg_hi:[0,0,1]
	v_pk_fma_f32 v[144:145], v[68:69], v[48:49], v[70:71] op_sel:[0,0,1] op_sel_hi:[1,0,0]
	ds_read2_b64 v[68:71], v129 offset0:6 offset1:249
	s_waitcnt vmcnt(2)
	v_pk_mul_f32 v[76:77], v[66:67], v[52:53] op_sel:[0,1]
	v_mov_b32_e32 v150, v51
	v_pk_fma_f32 v[158:159], v[66:67], v[52:53], v[76:77] op_sel:[0,0,1] op_sel_hi:[1,1,0] neg_lo:[0,0,1] neg_hi:[0,0,1]
	v_pk_fma_f32 v[146:147], v[66:67], v[52:53], v[76:77] op_sel:[0,0,1] op_sel_hi:[1,0,0]
	ds_read2_b64 v[76:79], v125 offset0:12 offset1:255
	s_waitcnt lgkmcnt(1)
	v_pk_mul_f32 v[66:67], v[70:71], v[150:151] op_sel_hi:[1,0]
	v_mov_b32_e32 v144, v55
	v_pk_fma_f32 v[160:161], v[70:71], v[50:51], v[66:67] op_sel:[0,0,1] op_sel_hi:[1,1,0] neg_lo:[0,0,1] neg_hi:[0,0,1]
	v_pk_fma_f32 v[70:71], v[70:71], v[50:51], v[66:67] op_sel:[0,0,1] op_sel_hi:[1,0,0]
	v_pk_mul_f32 v[66:67], v[68:69], v[144:145] op_sel_hi:[1,0]
	s_waitcnt vmcnt(0) lgkmcnt(0)
	v_pk_mul_f32 v[166:167], v[78:79], v[56:57] op_sel:[0,1]
	v_pk_fma_f32 v[162:163], v[68:69], v[54:55], v[66:67] op_sel:[0,0,1] op_sel_hi:[1,1,0] neg_lo:[0,0,1] neg_hi:[0,0,1]
	v_pk_fma_f32 v[148:149], v[68:69], v[54:55], v[66:67] op_sel:[0,0,1] op_sel_hi:[1,0,0]
	v_pk_mul_f32 v[66:67], v[76:77], v[60:61] op_sel:[0,1]
	v_mov_b32_e32 v148, v63
	v_pk_fma_f32 v[164:165], v[76:77], v[60:61], v[66:67] op_sel:[0,0,1] op_sel_hi:[1,1,0] neg_lo:[0,0,1] neg_hi:[0,0,1]
	v_pk_fma_f32 v[76:77], v[76:77], v[60:61], v[66:67] op_sel:[0,0,1] op_sel_hi:[1,0,0]
	ds_read2_b64 v[66:69], v121 offset0:8 offset1:251
	v_pk_fma_f32 v[168:169], v[78:79], v[56:57], v[166:167] op_sel:[0,0,1] op_sel_hi:[1,1,0] neg_lo:[0,0,1] neg_hi:[0,0,1]
	v_pk_fma_f32 v[78:79], v[78:79], v[56:57], v[166:167] op_sel:[0,0,1] op_sel_hi:[1,0,0]
	v_mov_b32_e32 v146, v59
	v_mov_b32_e32 v157, v145
	s_waitcnt lgkmcnt(0)
	v_pk_mul_f32 v[166:167], v[66:67], v[148:149] op_sel_hi:[1,0]
	v_mov_b32_e32 v161, v71
	v_pk_fma_f32 v[170:171], v[66:67], v[62:63], v[166:167] op_sel:[0,0,1] op_sel_hi:[1,1,0] neg_lo:[0,0,1] neg_hi:[0,0,1]
	v_pk_fma_f32 v[66:67], v[66:67], v[62:63], v[166:167] op_sel:[0,0,1] op_sel_hi:[1,0,0]
	v_pk_mul_f32 v[166:167], v[68:69], v[146:147] op_sel_hi:[1,0]
	v_mov_b32_e32 v171, v67
	v_pk_fma_f32 v[172:173], v[68:69], v[58:59], v[166:167] op_sel:[0,0,1] op_sel_hi:[1,1,0] neg_lo:[0,0,1] neg_hi:[0,0,1]
	v_pk_fma_f32 v[166:167], v[68:69], v[58:59], v[166:167] op_sel:[0,0,1] op_sel_hi:[1,0,0]
	ds_read2_b64 v[66:69], v131 offset0:6 offset1:249
	v_mov_b32_e32 v165, v77
	v_mov_b32_e32 v51, 0x3cc
	v_pk_add_f32 v[70:71], v[156:157], v[160:161]
	v_pk_add_f32 v[76:77], v[156:157], v[160:161] neg_lo:[0,1] neg_hi:[0,1]
	v_cndmask_b32_e32 v51, 0, v51, vcc
	s_waitcnt lgkmcnt(0)
	v_pk_fma_f32 v[70:71], v[70:71], 0.5, v[68:69] op_sel_hi:[1,0,1] neg_lo:[1,0,0] neg_hi:[1,0,0]
	v_pk_mul_f32 v[76:77], v[76:77], s[2:3] op_sel_hi:[1,0]
	v_mov_b32_e32 v159, v147
	v_mov_b32_e32 v163, v149
	v_add_lshl_u32 v51, v154, v51, 3
	v_pk_add_f32 v[154:155], v[70:71], v[76:77] op_sel:[0,1] op_sel_hi:[1,0] neg_lo:[0,1] neg_hi:[0,1]
	v_pk_add_f32 v[70:71], v[70:71], v[76:77] op_sel:[0,1] op_sel_hi:[1,0]
	v_pk_add_f32 v[76:77], v[158:159], v[162:163]
	v_pk_add_f32 v[174:175], v[66:67], v[158:159]
	v_pk_fma_f32 v[76:77], v[76:77], 0.5, v[66:67] op_sel_hi:[1,0,1] neg_lo:[1,0,0] neg_hi:[1,0,0]
	v_pk_add_f32 v[66:67], v[158:159], v[162:163] neg_lo:[0,1] neg_hi:[0,1]
	v_pk_add_f32 v[156:157], v[68:69], v[156:157]
	v_pk_mul_f32 v[158:159], v[66:67], s[2:3] op_sel_hi:[1,0]
	ds_read2_b64 v[66:69], v82 offset1:243
	v_mov_b32_e32 v169, v79
	v_pk_add_f32 v[78:79], v[164:165], v[170:171]
	v_mov_b32_e32 v173, v167
	s_waitcnt lgkmcnt(0)
	v_pk_fma_f32 v[78:79], v[78:79], 0.5, v[66:67] op_sel_hi:[1,0,1] neg_lo:[1,0,0] neg_hi:[1,0,0]
	v_pk_add_f32 v[66:67], v[66:67], v[164:165]
	s_barrier
	v_pk_add_f32 v[66:67], v[66:67], v[170:171]
	ds_write_b64 v82, v[66:67]
	v_pk_add_f32 v[66:67], v[164:165], v[170:171] neg_lo:[0,1] neg_hi:[0,1]
	v_pk_add_f32 v[176:177], v[76:77], v[158:159] op_sel:[0,1] op_sel_hi:[1,0] neg_lo:[0,1] neg_hi:[0,1]
	v_pk_add_f32 v[76:77], v[76:77], v[158:159] op_sel:[0,1] op_sel_hi:[1,0]
	v_pk_add_f32 v[158:159], v[168:169], v[172:173]
	v_pk_mul_f32 v[66:67], v[66:67], s[2:3] op_sel_hi:[1,0]
	v_pk_fma_f32 v[158:159], v[158:159], 0.5, v[68:69] op_sel_hi:[1,0,1] neg_lo:[1,0,0] neg_hi:[1,0,0]
	v_pk_add_f32 v[68:69], v[68:69], v[168:169]
	v_pk_add_f32 v[164:165], v[78:79], v[66:67] op_sel:[0,1] op_sel_hi:[1,0] neg_lo:[0,1] neg_hi:[0,1]
	v_pk_add_f32 v[66:67], v[78:79], v[66:67] op_sel:[0,1] op_sel_hi:[1,0]
	v_mov_b32_e32 v79, v165
	v_mov_b32_e32 v78, v66
	;; [unrolled: 1-line block ×3, first 2 shown]
	v_pk_add_f32 v[66:67], v[68:69], v[172:173]
	ds_write_b64 v82, v[78:79] offset:2592
	ds_write_b64 v82, v[164:165] offset:5184
	ds_write_b64 v51, v[66:67]
	v_pk_add_f32 v[66:67], v[168:169], v[172:173] neg_lo:[0,1] neg_hi:[0,1]
	v_mad_legacy_u16 v55, v73, s12, v75
	v_pk_mul_f32 v[66:67], v[66:67], s[2:3] op_sel_hi:[1,0]
	v_lshlrev_b32_e32 v59, 3, v55
	v_pk_add_f32 v[68:69], v[158:159], v[66:67] op_sel:[0,1] op_sel_hi:[1,0]
	v_pk_add_f32 v[66:67], v[158:159], v[66:67] op_sel:[0,1] op_sel_hi:[1,0] neg_lo:[0,1] neg_hi:[0,1]
	v_mov_b32_e32 v78, v68
	v_mov_b32_e32 v79, v67
	;; [unrolled: 1-line block ×3, first 2 shown]
	ds_write_b64 v51, v[66:67] offset:5184
	v_pk_add_f32 v[66:67], v[174:175], v[162:163]
	ds_write_b64 v51, v[78:79] offset:2592
	ds_write_b64 v59, v[66:67]
	v_mov_b32_e32 v66, v76
	v_mov_b32_e32 v67, v177
	ds_write_b64 v59, v[66:67] offset:2592
	v_mov_b32_e32 v177, v77
	v_pk_add_f32 v[66:67], v[156:157], v[160:161]
	v_lshlrev_b32_e32 v55, 3, v137
	ds_write_b64 v59, v[176:177] offset:5184
	ds_write_b64 v55, v[66:67] offset:15552
	v_mov_b32_e32 v66, v70
	v_mov_b32_e32 v67, v155
	ds_write_b64 v55, v[66:67] offset:18144
	v_lshl_add_u64 v[66:67], s[10:11], 0, v[152:153]
	v_add_co_u32_e32 v66, vcc, s14, v66
	v_lshl_add_u64 v[68:69], s[10:11], 0, v[64:65]
	s_nop 0
	v_addc_co_u32_e32 v67, vcc, 0, v67, vcc
	v_mov_b32_e32 v155, v71
	v_add_co_u32_e32 v68, vcc, s14, v68
	ds_write_b64 v55, v[154:155] offset:20736
	s_waitcnt lgkmcnt(0)
	s_barrier
	global_load_dwordx4 v[64:67], v[66:67], off offset:3632
	v_addc_co_u32_e32 v69, vcc, 0, v69, vcc
	global_load_dwordx4 v[68:71], v[68:69], off offset:3632
	v_mov_b32_e32 v73, v83
	v_lshl_add_u64 v[72:73], s[10:11], 0, v[72:73]
	v_add_co_u32_e32 v72, vcc, s14, v72
	v_mov_b32_e32 v75, v83
	s_nop 0
	v_addc_co_u32_e32 v73, vcc, 0, v73, vcc
	v_lshl_add_u64 v[76:77], s[10:11], 0, v[74:75]
	global_load_dwordx4 v[72:75], v[72:73], off offset:3632
	v_add_co_u32_e32 v76, vcc, s14, v76
	ds_read2_b64 v[152:155], v125 offset0:12 offset1:255
	s_nop 0
	v_addc_co_u32_e32 v77, vcc, 0, v77, vcc
	global_load_dwordx4 v[76:79], v[76:77], off offset:3632
	ds_read2_b64 v[160:163], v121 offset0:8 offset1:251
	v_add_u32_e32 v63, 0x25c0, v82
	s_mov_b64 s[10:11], 0x5b20
	s_waitcnt vmcnt(3) lgkmcnt(1)
	v_pk_mul_f32 v[156:157], v[152:153], v[64:65] op_sel:[0,1]
	s_nop 0
	v_pk_fma_f32 v[164:165], v[152:153], v[64:65], v[156:157] op_sel:[0,0,1] op_sel_hi:[1,1,0] neg_lo:[0,0,1] neg_hi:[0,0,1]
	v_pk_fma_f32 v[152:153], v[152:153], v[64:65], v[156:157] op_sel:[0,0,1] op_sel_hi:[1,0,0]
	s_waitcnt vmcnt(2)
	v_pk_mul_f32 v[156:157], v[154:155], v[68:69] op_sel:[0,1]
	v_mov_b32_e32 v152, v71
	v_pk_fma_f32 v[158:159], v[154:155], v[68:69], v[156:157] op_sel:[0,0,1] op_sel_hi:[1,0,0]
	v_pk_fma_f32 v[168:169], v[154:155], v[68:69], v[156:157] op_sel:[0,0,1] op_sel_hi:[1,1,0] neg_lo:[0,0,1] neg_hi:[0,0,1]
	v_mov_b32_e32 v158, v67
	s_waitcnt lgkmcnt(0)
	v_pk_mul_f32 v[154:155], v[160:161], v[158:159] op_sel_hi:[1,0]
	v_mov_b32_e32 v165, v153
	v_pk_fma_f32 v[166:167], v[160:161], v[66:67], v[154:155] op_sel:[0,0,1] op_sel_hi:[1,1,0] neg_lo:[0,0,1] neg_hi:[0,0,1]
	v_pk_fma_f32 v[170:171], v[160:161], v[66:67], v[154:155] op_sel:[0,0,1] op_sel_hi:[1,0,0]
	ds_read2_b64 v[154:157], v123 offset0:2 offset1:245
	v_pk_mul_f32 v[160:161], v[162:163], v[152:153] op_sel_hi:[1,0]
	v_mov_b32_e32 v167, v171
	v_pk_fma_f32 v[172:173], v[162:163], v[70:71], v[160:161] op_sel:[0,0,1] op_sel_hi:[1,1,0] neg_lo:[0,0,1] neg_hi:[0,0,1]
	v_pk_fma_f32 v[174:175], v[162:163], v[70:71], v[160:161] op_sel:[0,0,1] op_sel_hi:[1,0,0]
	s_waitcnt vmcnt(1) lgkmcnt(0)
	v_pk_mul_f32 v[160:161], v[154:155], v[72:73] op_sel:[0,1]
	s_waitcnt vmcnt(0)
	v_pk_mul_f32 v[178:179], v[156:157], v[76:77] op_sel:[0,1]
	v_pk_fma_f32 v[176:177], v[154:155], v[72:73], v[160:161] op_sel:[0,0,1] op_sel_hi:[1,1,0] neg_lo:[0,0,1] neg_hi:[0,0,1]
	v_pk_fma_f32 v[154:155], v[154:155], v[72:73], v[160:161] op_sel:[0,0,1] op_sel_hi:[1,0,0]
	ds_read2_b64 v[160:163], v129 offset0:6 offset1:249
	v_pk_fma_f32 v[180:181], v[156:157], v[76:77], v[178:179] op_sel:[0,0,1] op_sel_hi:[1,1,0] neg_lo:[0,0,1] neg_hi:[0,0,1]
	v_pk_fma_f32 v[156:157], v[156:157], v[76:77], v[178:179] op_sel:[0,0,1] op_sel_hi:[1,0,0]
	v_mov_b32_e32 v154, v79
	v_mov_b32_e32 v156, v75
	s_waitcnt lgkmcnt(0)
	v_pk_mul_f32 v[178:179], v[160:161], v[156:157] op_sel_hi:[1,0]
	v_mov_b32_e32 v173, v175
	v_pk_fma_f32 v[182:183], v[160:161], v[74:75], v[178:179] op_sel:[0,0,1] op_sel_hi:[1,1,0] neg_lo:[0,0,1] neg_hi:[0,0,1]
	v_pk_fma_f32 v[178:179], v[160:161], v[74:75], v[178:179] op_sel:[0,0,1] op_sel_hi:[1,0,0]
	v_pk_mul_f32 v[160:161], v[162:163], v[154:155] op_sel_hi:[1,0]
	v_pk_add_f32 v[174:175], v[164:165], v[166:167]
	v_pk_fma_f32 v[184:185], v[162:163], v[78:79], v[160:161] op_sel:[0,0,1] op_sel_hi:[1,1,0] neg_lo:[0,0,1] neg_hi:[0,0,1]
	v_pk_fma_f32 v[186:187], v[162:163], v[78:79], v[160:161] op_sel:[0,0,1] op_sel_hi:[1,0,0]
	ds_read2_b64 v[160:163], v82 offset1:243
	v_mov_b32_e32 v169, v159
	v_mov_b32_e32 v177, v155
	;; [unrolled: 1-line block ×3, first 2 shown]
	v_add_u32_e32 v67, 0x4400, v82
	s_waitcnt lgkmcnt(0)
	v_pk_add_f32 v[170:171], v[160:161], v[164:165]
	v_pk_add_f32 v[164:165], v[164:165], v[166:167] neg_lo:[0,1] neg_hi:[0,1]
	v_pk_fma_f32 v[160:161], v[174:175], 0.5, v[160:161] op_sel_hi:[1,0,1] neg_lo:[1,0,0] neg_hi:[1,0,0]
	v_pk_mul_f32 v[164:165], v[164:165], s[2:3] op_sel_hi:[1,0]
	v_pk_add_f32 v[170:171], v[170:171], v[166:167]
	v_pk_add_f32 v[166:167], v[160:161], v[164:165] op_sel:[0,1] op_sel_hi:[1,0]
	v_pk_add_f32 v[160:161], v[160:161], v[164:165] op_sel:[0,1] op_sel_hi:[1,0] neg_lo:[0,1] neg_hi:[0,1]
	v_mov_b32_e32 v164, v166
	v_mov_b32_e32 v165, v161
	;; [unrolled: 1-line block ×3, first 2 shown]
	ds_write_b64 v82, v[160:161] offset:15552
	v_pk_add_f32 v[160:161], v[162:163], v[168:169]
	ds_write_b64 v82, v[164:165] offset:7776
	v_pk_add_f32 v[160:161], v[160:161], v[172:173]
	ds_read2_b64 v[164:167], v131 offset0:6 offset1:249
	ds_write2_b64 v82, v[170:171], v[160:161] offset1:243
	v_pk_add_f32 v[160:161], v[168:169], v[172:173]
	v_pk_add_f32 v[170:171], v[176:177], v[182:183] neg_lo:[0,1] neg_hi:[0,1]
	v_pk_fma_f32 v[160:161], v[160:161], 0.5, v[162:163] op_sel_hi:[1,0,1] neg_lo:[1,0,0] neg_hi:[1,0,0]
	v_pk_add_f32 v[162:163], v[168:169], v[172:173] neg_lo:[0,1] neg_hi:[0,1]
	v_pk_mul_f32 v[170:171], v[170:171], s[2:3] op_sel_hi:[1,0]
	v_pk_mul_f32 v[162:163], v[162:163], s[2:3] op_sel_hi:[1,0]
	v_mov_b32_e32 v181, v157
	v_pk_add_f32 v[168:169], v[160:161], v[162:163] op_sel:[0,1] op_sel_hi:[1,0]
	v_pk_add_f32 v[160:161], v[160:161], v[162:163] op_sel:[0,1] op_sel_hi:[1,0] neg_lo:[0,1] neg_hi:[0,1]
	v_pk_add_f32 v[162:163], v[176:177], v[182:183]
	v_mov_b32_e32 v185, v187
	s_waitcnt lgkmcnt(1)
	v_pk_fma_f32 v[162:163], v[162:163], 0.5, v[164:165] op_sel_hi:[1,0,1] neg_lo:[1,0,0] neg_hi:[1,0,0]
	s_nop 0
	v_pk_add_f32 v[172:173], v[162:163], v[170:171] op_sel:[0,1] op_sel_hi:[1,0]
	v_pk_add_f32 v[162:163], v[162:163], v[170:171] op_sel:[0,1] op_sel_hi:[1,0] neg_lo:[0,1] neg_hi:[0,1]
	v_mov_b32_e32 v171, v161
	v_mov_b32_e32 v175, v163
	;; [unrolled: 1-line block ×4, first 2 shown]
	ds_write2_b64 v67, v[160:161], v[162:163] offset0:11 offset1:254
	v_pk_add_f32 v[160:161], v[164:165], v[176:177]
	v_pk_add_f32 v[162:163], v[166:167], v[180:181]
	;; [unrolled: 1-line block ×4, first 2 shown]
	ds_write2_b64 v131, v[160:161], v[162:163] offset0:6 offset1:249
	v_pk_add_f32 v[160:161], v[180:181], v[184:185]
	v_pk_add_f32 v[162:163], v[180:181], v[184:185] neg_lo:[0,1] neg_hi:[0,1]
	v_pk_fma_f32 v[160:161], v[160:161], 0.5, v[166:167] op_sel_hi:[1,0,1] neg_lo:[1,0,0] neg_hi:[1,0,0]
	v_pk_mul_f32 v[162:163], v[162:163], s[2:3] op_sel_hi:[1,0]
	v_mov_b32_e32 v170, v168
	v_pk_add_f32 v[164:165], v[160:161], v[162:163] op_sel:[0,1] op_sel_hi:[1,0]
	v_pk_add_f32 v[160:161], v[160:161], v[162:163] op_sel:[0,1] op_sel_hi:[1,0] neg_lo:[0,1] neg_hi:[0,1]
	v_mov_b32_e32 v174, v172
	v_mov_b32_e32 v162, v164
	;; [unrolled: 1-line block ×4, first 2 shown]
	ds_write2_b64 v63, v[170:171], v[174:175] offset0:7 offset1:250
	ds_write_b64 v82, v[162:163] offset:13608
	ds_write_b64 v82, v[160:161] offset:21384
	s_waitcnt lgkmcnt(0)
	s_barrier
	global_load_dwordx2 v[126:127], v[126:127], off offset:2848
	v_lshl_add_u64 v[160:161], v[112:113], 0, s[10:11]
	s_movk_i32 s10, 0x7000
	global_load_dwordx2 v[168:169], v[160:161], off offset:1944
	global_load_dwordx2 v[170:171], v[160:161], off offset:3888
	v_add_co_u32_e32 v160, vcc, s10, v112
	s_mov_b32 s10, 0x8000
	s_nop 0
	v_addc_co_u32_e32 v161, vcc, 0, v113, vcc
	global_load_dwordx2 v[172:173], v[160:161], off offset:488
	global_load_dwordx2 v[174:175], v[160:161], off offset:2432
	v_add_co_u32_e32 v160, vcc, s10, v112
	s_mov_b32 s10, 0x9000
	s_nop 0
	v_addc_co_u32_e32 v161, vcc, 0, v113, vcc
	;; [unrolled: 6-line block ×3, first 2 shown]
	global_load_dwordx2 v[180:181], v[160:161], off offset:72
	global_load_dwordx2 v[182:183], v[160:161], off offset:2016
	;; [unrolled: 1-line block ×3, first 2 shown]
	v_add_co_u32_e32 v112, vcc, s10, v112
	s_mov_b32 s10, -0.5
	s_nop 0
	v_addc_co_u32_e32 v113, vcc, 0, v113, vcc
	global_load_dwordx2 v[186:187], v[112:113], off offset:1808
	s_nop 0
	global_load_dwordx2 v[112:113], v[112:113], off offset:3752
	ds_read2_b64 v[160:163], v82 offset1:243
	s_mov_b32 s11, s2
	s_waitcnt vmcnt(11) lgkmcnt(0)
	v_mul_f32_e32 v71, v161, v127
	v_mul_f32_e32 v165, v160, v127
	v_fma_f32 v164, v160, v126, -v71
	v_fmac_f32_e32 v165, v161, v126
	ds_write_b64 v82, v[164:165]
	ds_read2_b64 v[164:167], v131 offset0:6 offset1:249
	s_waitcnt vmcnt(10)
	v_mul_f32_e32 v71, v163, v169
	v_mul_f32_e32 v127, v162, v169
	v_fma_f32 v126, v162, v168, -v71
	v_fmac_f32_e32 v127, v163, v168
	s_waitcnt vmcnt(9) lgkmcnt(0)
	v_mul_f32_e32 v71, v165, v171
	ds_read2_b64 v[160:163], v125 offset0:12 offset1:255
	v_fma_f32 v168, v164, v170, -v71
	v_mul_f32_e32 v169, v164, v171
	s_waitcnt vmcnt(8)
	v_mul_f32_e32 v71, v167, v173
	v_mul_f32_e32 v171, v166, v173
	v_fmac_f32_e32 v169, v165, v170
	v_fma_f32 v170, v166, v172, -v71
	v_fmac_f32_e32 v171, v167, v172
	ds_read2_b64 v[164:167], v123 offset0:2 offset1:245
	s_waitcnt vmcnt(7) lgkmcnt(1)
	v_mul_f32_e32 v71, v161, v175
	v_fma_f32 v172, v160, v174, -v71
	v_mul_f32_e32 v173, v160, v175
	s_waitcnt vmcnt(6)
	v_mul_f32_e32 v71, v163, v177
	v_mul_f32_e32 v175, v162, v177
	v_fmac_f32_e32 v173, v161, v174
	v_fma_f32 v174, v162, v176, -v71
	v_fmac_f32_e32 v175, v163, v176
	s_waitcnt vmcnt(5) lgkmcnt(0)
	v_mul_f32_e32 v71, v165, v179
	ds_read2_b64 v[160:163], v121 offset0:8 offset1:251
	v_fma_f32 v176, v164, v178, -v71
	v_mul_f32_e32 v177, v164, v179
	s_waitcnt vmcnt(4)
	v_mul_f32_e32 v71, v167, v181
	v_mul_f32_e32 v179, v166, v181
	v_fmac_f32_e32 v177, v165, v178
	v_fma_f32 v178, v166, v180, -v71
	v_fmac_f32_e32 v179, v167, v180
	ds_read2_b64 v[164:167], v129 offset0:6 offset1:249
	s_waitcnt vmcnt(3) lgkmcnt(1)
	v_mul_f32_e32 v71, v161, v183
	v_fma_f32 v180, v160, v182, -v71
	s_waitcnt vmcnt(2)
	v_mul_f32_e32 v71, v163, v185
	v_mul_f32_e32 v181, v160, v183
	v_fma_f32 v160, v162, v184, -v71
	s_waitcnt vmcnt(1) lgkmcnt(0)
	v_mul_f32_e32 v71, v165, v187
	v_fmac_f32_e32 v181, v161, v182
	v_mul_f32_e32 v161, v162, v185
	v_fma_f32 v162, v164, v186, -v71
	s_waitcnt vmcnt(0)
	v_mul_f32_e32 v71, v167, v113
	v_fmac_f32_e32 v161, v163, v184
	v_mul_f32_e32 v163, v164, v187
	v_fma_f32 v164, v166, v112, -v71
	v_add_u32_e32 v71, 0x780, v82
	v_fmac_f32_e32 v163, v165, v186
	v_mul_f32_e32 v165, v166, v113
	ds_write2_b64 v71, v[126:127], v[168:169] offset0:3 offset1:246
	v_add_u32_e32 v71, 0x1680, v82
	v_fmac_f32_e32 v165, v167, v112
	ds_write2_b64 v71, v[170:171], v[172:173] offset0:9 offset1:252
	v_add_u32_e32 v71, 0x3500, v82
	ds_write2_b64 v71, v[178:179], v[180:181] offset0:5 offset1:248
	ds_write2_b64 v63, v[174:175], v[176:177] offset0:7 offset1:250
	ds_write2_b64 v67, v[160:161], v[162:163] offset0:11 offset1:254
	ds_write_b64 v82, v[164:165] offset:21384
	s_waitcnt lgkmcnt(0)
	s_barrier
	ds_read2_b64 v[160:163], v125 offset0:12 offset1:255
	ds_read2_b64 v[164:167], v121 offset0:8 offset1:251
	ds_read2_b64 v[168:171], v82 offset1:243
	ds_read2_b64 v[172:175], v123 offset0:2 offset1:245
	ds_read2_b64 v[176:179], v129 offset0:6 offset1:249
	;; [unrolled: 1-line block ×3, first 2 shown]
	s_waitcnt lgkmcnt(0)
	s_barrier
	v_pk_add_f32 v[112:113], v[160:161], v[164:165]
	v_pk_add_f32 v[126:127], v[160:161], v[164:165] neg_lo:[0,1] neg_hi:[0,1]
	v_pk_fma_f32 v[112:113], v[112:113], 0.5, v[168:169] op_sel_hi:[1,0,1] neg_lo:[1,0,0] neg_hi:[1,0,0]
	v_pk_mul_f32 v[126:127], v[126:127], s[2:3] op_sel_hi:[1,0]
	v_pk_add_f32 v[192:193], v[172:173], v[176:177] neg_lo:[0,1] neg_hi:[0,1]
	v_pk_add_f32 v[188:189], v[112:113], v[126:127] op_sel:[0,1] op_sel_hi:[1,0] neg_lo:[0,1] neg_hi:[0,1]
	v_pk_add_f32 v[112:113], v[112:113], v[126:127] op_sel:[0,1] op_sel_hi:[1,0]
	v_pk_add_f32 v[126:127], v[172:173], v[176:177]
	v_pk_add_f32 v[160:161], v[168:169], v[160:161]
	v_fma_f32 v190, -0.5, v127, v181
	v_fma_f32 v126, -0.5, v126, v180
	v_fmamk_f32 v184, v192, 0x3f5db3d7, v190
	v_pk_mul_f32 v[184:185], v[184:185], s[6:7] op_sel_hi:[0,1]
	v_fmamk_f32 v186, v193, 0xbf5db3d7, v126
	v_pk_fma_f32 v[194:195], v[186:187], s[8:9], v[184:185] neg_lo:[0,0,1] neg_hi:[0,0,1]
	v_pk_fma_f32 v[184:185], v[186:187], s[8:9], v[184:185] op_sel_hi:[0,1,1]
	v_pk_add_f32 v[160:161], v[160:161], v[164:165]
	v_pk_add_f32 v[164:165], v[180:181], v[172:173]
	v_fmac_f32_e32 v190, 0xbf5db3d7, v192
	v_mov_b32_e32 v195, v185
	v_pk_add_f32 v[164:165], v[164:165], v[176:177]
	v_mov_b32_e32 v168, v188
	v_mov_b32_e32 v169, v113
	v_fmac_f32_e32 v126, 0x3f5db3d7, v193
	v_pk_mul_f32 v[172:173], v[190:191], s[6:7] op_sel_hi:[0,1]
	v_pk_add_f32 v[184:185], v[160:161], v[164:165]
	v_pk_add_f32 v[186:187], v[168:169], v[194:195]
	v_pk_fma_f32 v[126:127], v[126:127], s[10:11], v[172:173] op_sel_hi:[0,1,1] neg_lo:[0,0,1] neg_hi:[0,0,1]
	v_mov_b32_e32 v113, v189
	ds_write_b128 v133, v[184:187]
	v_pk_add_f32 v[186:187], v[160:161], v[164:165] neg_lo:[0,1] neg_hi:[0,1]
	v_pk_add_f32 v[184:185], v[112:113], v[126:127]
	ds_write_b128 v133, v[184:187] offset:16
	v_pk_add_f32 v[186:187], v[112:113], v[126:127] neg_lo:[0,1] neg_hi:[0,1]
	v_pk_add_f32 v[112:113], v[170:171], v[162:163]
	v_pk_add_f32 v[126:127], v[162:163], v[166:167]
	v_pk_add_f32 v[160:161], v[162:163], v[166:167] neg_lo:[0,1] neg_hi:[0,1]
	v_pk_add_f32 v[162:163], v[174:175], v[178:179]
	v_pk_add_f32 v[164:165], v[174:175], v[178:179] neg_lo:[0,1] neg_hi:[0,1]
	v_fma_f32 v172, -0.5, v163, v183
	v_pk_fma_f32 v[126:127], v[126:127], 0.5, v[170:171] op_sel_hi:[1,0,1] neg_lo:[1,0,0] neg_hi:[1,0,0]
	v_pk_mul_f32 v[160:161], v[160:161], s[2:3] op_sel_hi:[1,0]
	v_pk_add_f32 v[184:185], v[168:169], v[194:195] neg_lo:[0,1] neg_hi:[0,1]
	v_fma_f32 v168, -0.5, v162, v182
	v_pk_add_f32 v[170:171], v[126:127], v[160:161] op_sel:[0,1] op_sel_hi:[1,0] neg_lo:[0,1] neg_hi:[0,1]
	v_pk_add_f32 v[126:127], v[126:127], v[160:161] op_sel:[0,1] op_sel_hi:[1,0]
	v_fmamk_f32 v160, v164, 0x3f5db3d7, v172
	v_pk_mul_f32 v[160:161], v[160:161], s[6:7] op_sel_hi:[0,1]
	v_fmamk_f32 v162, v165, 0xbf5db3d7, v168
	v_pk_add_f32 v[112:113], v[112:113], v[166:167]
	v_pk_add_f32 v[166:167], v[182:183], v[174:175]
	v_pk_fma_f32 v[174:175], v[162:163], s[8:9], v[160:161] neg_lo:[0,0,1] neg_hi:[0,0,1]
	v_pk_fma_f32 v[160:161], v[162:163], s[8:9], v[160:161] op_sel_hi:[0,1,1]
	v_pk_add_f32 v[166:167], v[166:167], v[178:179]
	v_mov_b32_e32 v175, v161
	v_mov_b32_e32 v176, v170
	v_mov_b32_e32 v177, v127
	v_pk_add_f32 v[160:161], v[112:113], v[166:167]
	v_pk_add_f32 v[162:163], v[176:177], v[174:175]
	v_fmac_f32_e32 v172, 0xbf5db3d7, v164
	ds_write_b128 v133, v[184:187] offset:32
	ds_write_b128 v81, v[160:163]
	v_fmac_f32_e32 v168, 0x3f5db3d7, v165
	v_pk_mul_f32 v[160:161], v[172:173], s[6:7] op_sel_hi:[0,1]
	v_pk_fma_f32 v[164:165], v[168:169], s[10:11], v[160:161] op_sel_hi:[0,1,1] neg_lo:[0,0,1] neg_hi:[0,0,1]
	v_mov_b32_e32 v127, v171
	v_pk_add_f32 v[162:163], v[112:113], v[166:167] neg_lo:[0,1] neg_hi:[0,1]
	v_pk_add_f32 v[160:161], v[126:127], v[164:165]
	ds_write_b128 v81, v[160:163] offset:16
	v_pk_add_f32 v[160:161], v[176:177], v[174:175] neg_lo:[0,1] neg_hi:[0,1]
	v_pk_add_f32 v[162:163], v[126:127], v[164:165] neg_lo:[0,1] neg_hi:[0,1]
	ds_write_b128 v81, v[160:163] offset:32
	s_waitcnt lgkmcnt(0)
	s_barrier
	ds_read2_b64 v[160:163], v125 offset0:12 offset1:255
	ds_read2_b64 v[164:167], v131 offset0:6 offset1:249
	v_mov_b32_e32 v81, v108
	s_waitcnt lgkmcnt(1)
	v_pk_mul_f32 v[112:113], v[124:125], v[162:163] op_sel_hi:[0,1]
	v_pk_fma_f32 v[126:127], v[6:7], v[162:163], v[112:113] op_sel:[0,0,1] op_sel_hi:[1,1,0]
	v_pk_fma_f32 v[112:113], v[6:7], v[162:163], v[112:113] op_sel:[0,0,1] op_sel_hi:[0,1,0] neg_lo:[0,0,1] neg_hi:[0,0,1]
	s_waitcnt lgkmcnt(0)
	v_pk_mul_f32 v[162:163], v[4:5], v[166:167] op_sel:[1,0]
	v_mov_b32_e32 v127, v113
	v_pk_fma_f32 v[170:171], v[4:5], v[166:167], v[162:163] op_sel:[0,0,1] op_sel_hi:[0,1,0]
	v_pk_fma_f32 v[4:5], v[4:5], v[166:167], v[162:163] op_sel:[0,0,1] op_sel_hi:[0,1,0] neg_lo:[0,0,1] neg_hi:[0,0,1]
	v_pk_mul_f32 v[162:163], v[0:1], v[164:165] op_sel:[1,0]
	ds_read2_b64 v[166:169], v123 offset0:2 offset1:245
	v_pk_fma_f32 v[172:173], v[0:1], v[164:165], v[162:163] op_sel:[0,0,1] op_sel_hi:[0,1,0]
	v_pk_fma_f32 v[174:175], v[0:1], v[164:165], v[162:163] op_sel:[0,0,1] op_sel_hi:[0,1,0] neg_lo:[0,0,1] neg_hi:[0,0,1]
	ds_read2_b64 v[162:165], v121 offset0:8 offset1:251
	v_pk_mul_f32 v[0:1], v[120:121], v[160:161] op_sel_hi:[0,1]
	v_pk_fma_f32 v[176:177], v[2:3], v[160:161], v[0:1] op_sel:[0,0,1] op_sel_hi:[1,1,0]
	v_pk_fma_f32 v[160:161], v[2:3], v[160:161], v[0:1] op_sel:[0,0,1] op_sel_hi:[0,1,0] neg_lo:[0,0,1] neg_hi:[0,0,1]
	v_mov_b32_e32 v173, v175
	s_waitcnt lgkmcnt(0)
	v_pk_mul_f32 v[0:1], v[122:123], v[164:165] op_sel_hi:[0,1]
	v_pk_fma_f32 v[178:179], v[14:15], v[164:165], v[0:1] op_sel:[0,0,1] op_sel_hi:[1,1,0]
	v_pk_fma_f32 v[14:15], v[14:15], v[164:165], v[0:1] op_sel:[0,0,1] op_sel_hi:[0,1,0] neg_lo:[0,0,1] neg_hi:[0,0,1]
	v_pk_mul_f32 v[0:1], v[12:13], v[168:169] op_sel:[1,0]
	v_mov_b32_e32 v177, v161
	v_pk_fma_f32 v[164:165], v[12:13], v[168:169], v[0:1] op_sel:[0,0,1] op_sel_hi:[1,1,0]
	v_pk_fma_f32 v[12:13], v[12:13], v[168:169], v[0:1] op_sel:[0,0,1] op_sel_hi:[0,1,0] neg_lo:[0,0,1] neg_hi:[0,0,1]
	ds_read2_b64 v[0:3], v129 offset0:6 offset1:249
	v_pk_mul_f32 v[168:169], v[8:9], v[166:167] op_sel:[1,0]
	v_mov_b32_e32 v179, v15
	v_pk_fma_f32 v[180:181], v[8:9], v[166:167], v[168:169] op_sel:[0,0,1] op_sel_hi:[1,1,0]
	v_pk_fma_f32 v[8:9], v[8:9], v[166:167], v[168:169] op_sel:[0,0,1] op_sel_hi:[0,1,0] neg_lo:[0,0,1] neg_hi:[0,0,1]
	v_pk_mul_f32 v[166:167], v[118:119], v[162:163] op_sel_hi:[0,1]
	v_pk_fma_f32 v[168:169], v[10:11], v[162:163], v[166:167] op_sel:[0,0,1] op_sel_hi:[1,1,0]
	v_pk_fma_f32 v[10:11], v[10:11], v[162:163], v[166:167] op_sel:[0,0,1] op_sel_hi:[0,1,0] neg_lo:[0,0,1] neg_hi:[0,0,1]
	s_waitcnt lgkmcnt(0)
	v_pk_mul_f32 v[162:163], v[116:117], v[2:3] op_sel:[1,0]
	v_mov_b32_e32 v181, v9
	v_pk_fma_f32 v[166:167], v[116:117], v[2:3], v[162:163] op_sel:[0,0,1] op_sel_hi:[1,1,0]
	v_pk_fma_f32 v[116:117], v[116:117], v[2:3], v[162:163] op_sel:[0,0,1] op_sel_hi:[0,1,0] neg_lo:[0,0,1] neg_hi:[0,0,1]
	v_pk_mul_f32 v[2:3], v[114:115], v[0:1] op_sel:[1,0]
	v_mov_b32_e32 v169, v11
	v_pk_fma_f32 v[162:163], v[114:115], v[0:1], v[2:3] op_sel:[0,0,1] op_sel_hi:[1,1,0]
	v_pk_fma_f32 v[0:1], v[114:115], v[0:1], v[2:3] op_sel:[0,0,1] op_sel_hi:[0,1,0] neg_lo:[0,0,1] neg_hi:[0,0,1]
	v_mov_b32_e32 v163, v1
	ds_read2_b64 v[0:3], v82 offset1:243
	v_pk_add_f32 v[8:9], v[180:181], v[162:163]
	v_pk_add_f32 v[114:115], v[172:173], v[180:181]
	v_pk_add_f32 v[10:11], v[180:181], v[162:163] neg_lo:[0,1] neg_hi:[0,1]
	v_pk_add_f32 v[114:115], v[114:115], v[162:163]
	v_fmac_f32_e32 v175, -0.5, v9
	v_pk_add_f32 v[160:161], v[176:177], v[168:169]
	v_pk_add_f32 v[162:163], v[176:177], v[168:169] neg_lo:[0,1] neg_hi:[0,1]
	v_fmac_f32_e32 v172, -0.5, v8
	s_waitcnt lgkmcnt(0)
	v_pk_add_f32 v[8:9], v[0:1], v[176:177]
	v_pk_fma_f32 v[0:1], v[160:161], 0.5, v[0:1] op_sel_hi:[1,0,1] neg_lo:[1,0,0] neg_hi:[1,0,0]
	v_pk_mul_f32 v[160:161], v[162:163], s[2:3] op_sel_hi:[1,0]
	v_fmamk_f32 v4, v10, 0x3f5db3d7, v175
	v_pk_add_f32 v[162:163], v[0:1], v[160:161] op_sel:[0,1] op_sel_hi:[1,0] neg_lo:[0,1] neg_hi:[0,1]
	v_pk_add_f32 v[0:1], v[0:1], v[160:161] op_sel:[0,1] op_sel_hi:[1,0]
	v_pk_mul_f32 v[160:161], v[4:5], s[6:7] op_sel_hi:[0,1]
	v_fmamk_f32 v4, v11, 0xbf5db3d7, v172
	v_fmac_f32_e32 v175, 0xbf5db3d7, v10
	v_pk_add_f32 v[8:9], v[8:9], v[168:169]
	v_pk_fma_f32 v[168:169], v[4:5], s[8:9], v[160:161] neg_lo:[0,0,1] neg_hi:[0,0,1]
	v_pk_fma_f32 v[160:161], v[4:5], s[8:9], v[160:161] op_sel_hi:[0,1,1]
	v_mov_b32_e32 v4, v175
	v_fmac_f32_e32 v172, 0x3f5db3d7, v11
	v_pk_mul_f32 v[10:11], v[4:5], s[6:7] op_sel_hi:[0,1]
	v_mov_b32_e32 v169, v161
	v_mov_b32_e32 v161, v1
	v_pk_fma_f32 v[10:11], v[172:173], s[10:11], v[10:11] op_sel_hi:[0,1,1] neg_lo:[0,0,1] neg_hi:[0,0,1]
	v_mov_b32_e32 v1, v163
	v_mov_b32_e32 v160, v162
	v_pk_add_f32 v[176:177], v[8:9], v[114:115]
	v_pk_add_f32 v[8:9], v[8:9], v[114:115] neg_lo:[0,1] neg_hi:[0,1]
	v_pk_add_f32 v[114:115], v[0:1], v[10:11]
	s_barrier
	v_pk_add_f32 v[180:181], v[160:161], v[168:169]
	ds_write2_b64 v7, v[114:115], v[8:9] offset0:12 offset1:18
	v_pk_add_f32 v[8:9], v[160:161], v[168:169] neg_lo:[0,1] neg_hi:[0,1]
	v_pk_add_f32 v[0:1], v[0:1], v[10:11] neg_lo:[0,1] neg_hi:[0,1]
	ds_write2_b64 v7, v[176:177], v[180:181] offset1:6
	ds_write2_b64 v7, v[8:9], v[0:1] offset0:24 offset1:30
	v_pk_add_f32 v[0:1], v[126:127], v[178:179]
	v_pk_add_f32 v[6:7], v[126:127], v[178:179] neg_lo:[0,1] neg_hi:[0,1]
	v_pk_fma_f32 v[0:1], v[0:1], 0.5, v[2:3] op_sel_hi:[1,0,1] neg_lo:[1,0,0] neg_hi:[1,0,0]
	v_pk_mul_f32 v[6:7], v[6:7], s[2:3] op_sel_hi:[1,0]
	v_mov_b32_e32 v165, v13
	v_mov_b32_e32 v167, v117
	v_pk_add_f32 v[8:9], v[0:1], v[6:7] op_sel:[0,1] op_sel_hi:[1,0] neg_lo:[0,1] neg_hi:[0,1]
	v_pk_add_f32 v[0:1], v[6:7], v[0:1] op_sel:[1,0] op_sel_hi:[0,1]
	v_pk_add_f32 v[6:7], v[164:165], v[166:167]
	v_mov_b32_e32 v171, v5
	v_pk_add_f32 v[10:11], v[164:165], v[166:167] neg_lo:[0,1] neg_hi:[0,1]
	v_fmac_f32_e32 v5, -0.5, v7
	v_pk_add_f32 v[12:13], v[170:171], v[164:165]
	v_fmac_f32_e32 v170, -0.5, v6
	v_fmamk_f32 v6, v10, 0x3f5db3d7, v5
	v_pk_add_f32 v[2:3], v[2:3], v[126:127]
	v_fmamk_f32 v4, v11, 0xbf5db3d7, v170
	v_mul_f32_e32 v71, 0xbf5db3d7, v6
	v_mul_f32_e32 v75, 0.5, v6
	v_fmac_f32_e32 v5, 0xbf5db3d7, v10
	v_pk_add_f32 v[12:13], v[12:13], v[166:167]
	v_pk_add_f32 v[2:3], v[2:3], v[178:179]
	v_fmac_f32_e32 v71, 0.5, v4
	v_fmac_f32_e32 v75, 0x3f5db3d7, v4
	v_mov_b32_e32 v4, v5
	v_add_f32_e32 v6, v8, v71
	v_add_f32_e32 v7, v1, v75
	v_pk_add_f32 v[14:15], v[2:3], v[12:13]
	v_fmac_f32_e32 v170, 0x3f5db3d7, v11
	v_pk_mul_f32 v[4:5], v[4:5], s[6:7] op_sel_hi:[0,1]
	ds_write2_b64 v135, v[14:15], v[6:7] offset1:6
	v_pk_fma_f32 v[4:5], v[170:171], s[10:11], v[4:5] op_sel_hi:[0,1,1] neg_lo:[0,0,1] neg_hi:[0,0,1]
	v_mov_b32_e32 v6, v0
	v_mov_b32_e32 v7, v9
	v_pk_add_f32 v[2:3], v[2:3], v[12:13] neg_lo:[0,1] neg_hi:[0,1]
	v_pk_add_f32 v[10:11], v[6:7], v[4:5]
	ds_write2_b64 v135, v[10:11], v[2:3] offset0:12 offset1:18
	v_sub_f32_e32 v0, v8, v71
	v_sub_f32_e32 v1, v1, v75
	v_pk_add_f32 v[2:3], v[6:7], v[4:5] neg_lo:[0,1] neg_hi:[0,1]
	ds_write2_b64 v135, v[0:1], v[2:3] offset0:24 offset1:30
	s_waitcnt lgkmcnt(0)
	s_barrier
	ds_read2_b64 v[0:3], v123 offset0:2 offset1:245
	ds_read2_b64 v[4:7], v129 offset0:6 offset1:249
	s_mul_i32 s6, s5, 0xf30
	s_waitcnt lgkmcnt(1)
	v_pk_mul_f32 v[8:9], v[20:21], v[2:3] op_sel:[1,0]
	s_nop 0
	v_pk_fma_f32 v[10:11], v[20:21], v[2:3], v[8:9] op_sel:[0,0,1] op_sel_hi:[1,1,0]
	v_pk_fma_f32 v[12:13], v[20:21], v[2:3], v[8:9] op_sel:[0,0,1] op_sel_hi:[0,1,0] neg_lo:[0,0,1] neg_hi:[0,0,1]
	s_waitcnt lgkmcnt(0)
	v_pk_mul_f32 v[2:3], v[134:135], v[6:7] op_sel_hi:[0,1]
	v_pk_fma_f32 v[14:15], v[22:23], v[6:7], v[2:3] op_sel:[0,0,1] op_sel_hi:[1,1,0]
	v_pk_fma_f32 v[20:21], v[22:23], v[6:7], v[2:3] op_sel:[0,0,1] op_sel_hi:[0,1,0] neg_lo:[0,0,1] neg_hi:[0,0,1]
	v_pk_mul_f32 v[2:3], v[16:17], v[0:1] op_sel:[1,0]
	ds_read2_b64 v[6:9], v121 offset0:8 offset1:251
	v_pk_fma_f32 v[112:113], v[16:17], v[0:1], v[2:3] op_sel:[0,0,1] op_sel_hi:[1,1,0]
	v_pk_fma_f32 v[16:17], v[16:17], v[0:1], v[2:3] op_sel:[0,0,1] op_sel_hi:[0,1,0] neg_lo:[0,0,1] neg_hi:[0,0,1]
	ds_read2_b64 v[0:3], v125 offset0:12 offset1:255
	v_pk_mul_f32 v[114:115], v[128:129], v[4:5] op_sel_hi:[0,1]
	v_pk_fma_f32 v[116:117], v[18:19], v[4:5], v[114:115] op_sel:[0,0,1] op_sel_hi:[1,1,0]
	v_pk_fma_f32 v[114:115], v[18:19], v[4:5], v[114:115] op_sel:[0,0,1] op_sel_hi:[0,1,0] neg_lo:[0,0,1] neg_hi:[0,0,1]
	s_waitcnt lgkmcnt(1)
	v_pk_mul_f32 v[134:135], v[130:131], v[6:7] op_sel_hi:[0,1]
	s_waitcnt lgkmcnt(0)
	v_pk_mul_f32 v[4:5], v[28:29], v[2:3] op_sel:[1,0]
	v_pk_fma_f32 v[160:161], v[26:27], v[6:7], v[134:135] op_sel:[0,0,1] op_sel_hi:[1,1,0]
	v_pk_fma_f32 v[126:127], v[28:29], v[2:3], v[4:5] op_sel:[0,0,1] op_sel_hi:[1,1,0]
	v_pk_fma_f32 v[28:29], v[28:29], v[2:3], v[4:5] op_sel:[0,0,1] op_sel_hi:[0,1,0] neg_lo:[0,0,1] neg_hi:[0,0,1]
	v_pk_mul_f32 v[2:3], v[132:133], v[8:9] op_sel_hi:[0,1]
	v_pk_fma_f32 v[132:133], v[30:31], v[8:9], v[2:3] op_sel:[0,0,1] op_sel_hi:[1,1,0]
	v_pk_fma_f32 v[8:9], v[30:31], v[8:9], v[2:3] op_sel:[0,0,1] op_sel_hi:[0,1,0] neg_lo:[0,0,1] neg_hi:[0,0,1]
	v_pk_mul_f32 v[2:3], v[24:25], v[0:1] op_sel:[1,0]
	v_pk_fma_f32 v[6:7], v[26:27], v[6:7], v[134:135] op_sel:[0,0,1] op_sel_hi:[0,1,0] neg_lo:[0,0,1] neg_hi:[0,0,1]
	v_pk_fma_f32 v[4:5], v[24:25], v[0:1], v[2:3] op_sel:[0,0,1] op_sel_hi:[1,1,0]
	v_pk_fma_f32 v[24:25], v[24:25], v[0:1], v[2:3] op_sel:[0,0,1] op_sel_hi:[0,1,0] neg_lo:[0,0,1] neg_hi:[0,0,1]
	ds_read2_b64 v[0:3], v82 offset1:243
	v_mov_b32_e32 v5, v25
	v_mov_b32_e32 v161, v7
	;; [unrolled: 1-line block ×4, first 2 shown]
	s_waitcnt lgkmcnt(0)
	v_pk_add_f32 v[6:7], v[0:1], v[4:5]
	v_pk_add_f32 v[8:9], v[126:127], v[132:133] neg_lo:[0,1] neg_hi:[0,1]
	v_pk_add_f32 v[24:25], v[6:7], v[160:161]
	v_pk_add_f32 v[6:7], v[4:5], v[160:161]
	v_pk_add_f32 v[4:5], v[4:5], v[160:161] neg_lo:[0,1] neg_hi:[0,1]
	v_pk_fma_f32 v[0:1], v[6:7], 0.5, v[0:1] op_sel_hi:[1,0,1] neg_lo:[1,0,0] neg_hi:[1,0,0]
	v_pk_mul_f32 v[4:5], v[4:5], s[2:3] op_sel_hi:[1,0]
	v_pk_mul_f32 v[8:9], v[8:9], s[2:3] op_sel_hi:[1,0]
	v_pk_add_f32 v[134:135], v[0:1], v[4:5] op_sel:[0,1] op_sel_hi:[1,0] neg_lo:[0,1] neg_hi:[0,1]
	v_pk_add_f32 v[0:1], v[0:1], v[4:5] op_sel:[0,1] op_sel_hi:[1,0]
	ds_read2_b64 v[4:7], v131 offset0:6 offset1:249
	v_mov_b32_e32 v161, v1
	v_mov_b32_e32 v1, v135
	s_waitcnt lgkmcnt(0)
	s_barrier
	ds_write_b64 v19, v[0:1] offset:576
	v_pk_add_f32 v[0:1], v[126:127], v[132:133]
	v_mov_b32_e32 v160, v134
	v_pk_fma_f32 v[0:1], v[0:1], 0.5, v[2:3] op_sel_hi:[1,0,1] neg_lo:[1,0,0] neg_hi:[1,0,0]
	ds_write2_b64 v19, v[24:25], v[160:161] offset1:36
	v_pk_add_f32 v[2:3], v[2:3], v[126:127]
	v_pk_add_f32 v[18:19], v[0:1], v[8:9] op_sel:[0,1] op_sel_hi:[1,0]
	v_pk_add_f32 v[0:1], v[0:1], v[8:9] op_sel:[0,1] op_sel_hi:[1,0] neg_lo:[0,1] neg_hi:[0,1]
	v_pk_add_f32 v[2:3], v[2:3], v[132:133]
	v_mov_b32_e32 v8, v0
	v_mov_b32_e32 v9, v19
	;; [unrolled: 1-line block ×4, first 2 shown]
	ds_write2_b64 v23, v[2:3], v[8:9] offset1:36
	v_mov_b32_e32 v19, v1
	v_pk_add_f32 v[0:1], v[112:113], v[116:117]
	v_pk_add_f32 v[2:3], v[112:113], v[116:117] neg_lo:[0,1] neg_hi:[0,1]
	v_pk_fma_f32 v[0:1], v[0:1], 0.5, v[4:5] op_sel_hi:[1,0,1] neg_lo:[1,0,0] neg_hi:[1,0,0]
	v_pk_mul_f32 v[2:3], v[2:3], s[2:3] op_sel_hi:[1,0]
	v_mov_b32_e32 v11, v13
	v_pk_add_f32 v[8:9], v[0:1], v[2:3] op_sel:[0,1] op_sel_hi:[1,0]
	v_pk_add_f32 v[0:1], v[0:1], v[2:3] op_sel:[0,1] op_sel_hi:[1,0] neg_lo:[0,1] neg_hi:[0,1]
	v_pk_add_f32 v[2:3], v[4:5], v[112:113]
	v_mov_b32_e32 v4, v0
	v_pk_add_f32 v[2:3], v[2:3], v[116:117]
	v_mov_b32_e32 v5, v9
	v_mov_b32_e32 v15, v21
	ds_write_b64 v23, v[18:19] offset:576
	ds_write2_b64 v27, v[2:3], v[4:5] offset1:36
	v_mov_b32_e32 v9, v1
	v_pk_add_f32 v[0:1], v[10:11], v[14:15]
	v_pk_add_f32 v[4:5], v[10:11], v[14:15] neg_lo:[0,1] neg_hi:[0,1]
	v_pk_fma_f32 v[0:1], v[0:1], 0.5, v[6:7] op_sel_hi:[1,0,1] neg_lo:[1,0,0] neg_hi:[1,0,0]
	v_pk_mul_f32 v[4:5], v[4:5], s[2:3] op_sel_hi:[1,0]
	v_pk_add_f32 v[2:3], v[6:7], v[10:11]
	v_pk_add_f32 v[6:7], v[0:1], v[4:5] op_sel:[0,1] op_sel_hi:[1,0]
	v_pk_add_f32 v[0:1], v[0:1], v[4:5] op_sel:[0,1] op_sel_hi:[1,0] neg_lo:[0,1] neg_hi:[0,1]
	v_pk_add_f32 v[2:3], v[2:3], v[14:15]
	v_mov_b32_e32 v4, v0
	v_mov_b32_e32 v5, v7
	;; [unrolled: 1-line block ×3, first 2 shown]
	ds_write_b64 v27, v[8:9] offset:576
	ds_write2_b64 v31, v[2:3], v[4:5] offset1:36
	ds_write_b64 v31, v[6:7] offset:576
	s_waitcnt lgkmcnt(0)
	s_barrier
	ds_read2_b64 v[0:3], v123 offset0:2 offset1:245
	ds_read2_b64 v[4:7], v129 offset0:6 offset1:249
	s_waitcnt lgkmcnt(1)
	v_pk_mul_f32 v[8:9], v[36:37], v[2:3] op_sel:[1,0]
	s_nop 0
	v_pk_fma_f32 v[10:11], v[36:37], v[2:3], v[8:9] op_sel:[0,0,1] op_sel_hi:[1,1,0]
	v_pk_fma_f32 v[12:13], v[36:37], v[2:3], v[8:9] op_sel:[0,0,1] op_sel_hi:[0,1,0] neg_lo:[0,0,1] neg_hi:[0,0,1]
	s_waitcnt lgkmcnt(0)
	v_pk_mul_f32 v[2:3], v[142:143], v[6:7] op_sel_hi:[0,1]
	v_pk_fma_f32 v[14:15], v[38:39], v[6:7], v[2:3] op_sel:[0,0,1] op_sel_hi:[1,1,0]
	v_pk_fma_f32 v[16:17], v[38:39], v[6:7], v[2:3] op_sel:[0,0,1] op_sel_hi:[0,1,0] neg_lo:[0,0,1] neg_hi:[0,0,1]
	v_pk_mul_f32 v[2:3], v[32:33], v[0:1] op_sel:[1,0]
	ds_read2_b64 v[6:9], v121 offset0:8 offset1:251
	v_pk_fma_f32 v[18:19], v[32:33], v[0:1], v[2:3] op_sel:[0,0,1] op_sel_hi:[1,1,0]
	v_pk_fma_f32 v[20:21], v[32:33], v[0:1], v[2:3] op_sel:[0,0,1] op_sel_hi:[0,1,0] neg_lo:[0,0,1] neg_hi:[0,0,1]
	ds_read2_b64 v[0:3], v125 offset0:12 offset1:255
	v_pk_mul_f32 v[22:23], v[136:137], v[4:5] op_sel_hi:[0,1]
	v_pk_fma_f32 v[24:25], v[34:35], v[4:5], v[22:23] op_sel:[0,0,1] op_sel_hi:[1,1,0]
	v_pk_fma_f32 v[22:23], v[34:35], v[4:5], v[22:23] op_sel:[0,0,1] op_sel_hi:[0,1,0] neg_lo:[0,0,1] neg_hi:[0,0,1]
	s_waitcnt lgkmcnt(1)
	v_pk_mul_f32 v[36:37], v[138:139], v[6:7] op_sel_hi:[0,1]
	s_waitcnt lgkmcnt(0)
	v_pk_mul_f32 v[4:5], v[44:45], v[2:3] op_sel:[1,0]
	v_mov_b32_e32 v19, v21
	v_pk_fma_f32 v[26:27], v[44:45], v[2:3], v[4:5] op_sel:[0,0,1] op_sel_hi:[1,1,0]
	v_pk_fma_f32 v[28:29], v[44:45], v[2:3], v[4:5] op_sel:[0,0,1] op_sel_hi:[0,1,0] neg_lo:[0,0,1] neg_hi:[0,0,1]
	v_pk_mul_f32 v[2:3], v[140:141], v[8:9] op_sel_hi:[0,1]
	v_pk_fma_f32 v[30:31], v[46:47], v[8:9], v[2:3] op_sel:[0,0,1] op_sel_hi:[1,1,0]
	v_pk_fma_f32 v[8:9], v[46:47], v[8:9], v[2:3] op_sel:[0,0,1] op_sel_hi:[0,1,0] neg_lo:[0,0,1] neg_hi:[0,0,1]
	v_pk_mul_f32 v[2:3], v[40:41], v[0:1] op_sel:[1,0]
	v_mov_b32_e32 v27, v29
	v_pk_fma_f32 v[4:5], v[40:41], v[0:1], v[2:3] op_sel:[0,0,1] op_sel_hi:[1,1,0]
	v_pk_fma_f32 v[32:33], v[40:41], v[0:1], v[2:3] op_sel:[0,0,1] op_sel_hi:[0,1,0] neg_lo:[0,0,1] neg_hi:[0,0,1]
	ds_read2_b64 v[0:3], v82 offset1:243
	v_pk_fma_f32 v[40:41], v[42:43], v[6:7], v[36:37] op_sel:[0,0,1] op_sel_hi:[1,1,0]
	v_pk_fma_f32 v[6:7], v[42:43], v[6:7], v[36:37] op_sel:[0,0,1] op_sel_hi:[0,1,0] neg_lo:[0,0,1] neg_hi:[0,0,1]
	v_mov_b32_e32 v5, v33
	v_mov_b32_e32 v41, v7
	s_waitcnt lgkmcnt(0)
	v_pk_add_f32 v[6:7], v[0:1], v[4:5]
	v_mov_b32_e32 v31, v9
	v_pk_add_f32 v[32:33], v[6:7], v[40:41]
	v_pk_add_f32 v[6:7], v[4:5], v[40:41]
	v_pk_add_f32 v[4:5], v[4:5], v[40:41] neg_lo:[0,1] neg_hi:[0,1]
	v_pk_fma_f32 v[0:1], v[6:7], 0.5, v[0:1] op_sel_hi:[1,0,1] neg_lo:[1,0,0] neg_hi:[1,0,0]
	v_pk_mul_f32 v[4:5], v[4:5], s[2:3] op_sel_hi:[1,0]
	v_pk_add_f32 v[8:9], v[26:27], v[30:31] neg_lo:[0,1] neg_hi:[0,1]
	v_pk_add_f32 v[36:37], v[0:1], v[4:5] op_sel:[0,1] op_sel_hi:[1,0] neg_lo:[0,1] neg_hi:[0,1]
	v_pk_add_f32 v[0:1], v[0:1], v[4:5] op_sel:[0,1] op_sel_hi:[1,0]
	ds_read2_b64 v[4:7], v131 offset0:6 offset1:249
	v_mov_b32_e32 v41, v1
	v_mov_b32_e32 v1, v37
	s_waitcnt lgkmcnt(0)
	s_barrier
	ds_write_b64 v35, v[0:1] offset:1728
	v_pk_add_f32 v[0:1], v[26:27], v[30:31]
	v_pk_mul_f32 v[8:9], v[8:9], s[2:3] op_sel_hi:[1,0]
	v_pk_fma_f32 v[0:1], v[0:1], 0.5, v[2:3] op_sel_hi:[1,0,1] neg_lo:[1,0,0] neg_hi:[1,0,0]
	v_pk_add_f32 v[2:3], v[2:3], v[26:27]
	v_pk_add_f32 v[26:27], v[0:1], v[8:9] op_sel:[0,1] op_sel_hi:[1,0]
	v_pk_add_f32 v[0:1], v[0:1], v[8:9] op_sel:[0,1] op_sel_hi:[1,0] neg_lo:[0,1] neg_hi:[0,1]
	v_mov_b32_e32 v40, v36
	v_pk_add_f32 v[2:3], v[2:3], v[30:31]
	v_mov_b32_e32 v8, v0
	v_mov_b32_e32 v9, v27
	;; [unrolled: 1-line block ×3, first 2 shown]
	ds_write2_b64 v35, v[32:33], v[40:41] offset1:108
	ds_write2_b64 v39, v[2:3], v[8:9] offset1:108
	v_mov_b32_e32 v27, v1
	v_pk_add_f32 v[0:1], v[18:19], v[24:25]
	v_pk_add_f32 v[2:3], v[18:19], v[24:25] neg_lo:[0,1] neg_hi:[0,1]
	v_pk_fma_f32 v[0:1], v[0:1], 0.5, v[4:5] op_sel_hi:[1,0,1] neg_lo:[1,0,0] neg_hi:[1,0,0]
	v_pk_mul_f32 v[2:3], v[2:3], s[2:3] op_sel_hi:[1,0]
	v_mov_b32_e32 v11, v13
	v_pk_add_f32 v[8:9], v[0:1], v[2:3] op_sel:[0,1] op_sel_hi:[1,0]
	v_pk_add_f32 v[0:1], v[0:1], v[2:3] op_sel:[0,1] op_sel_hi:[1,0] neg_lo:[0,1] neg_hi:[0,1]
	v_pk_add_f32 v[2:3], v[4:5], v[18:19]
	v_mov_b32_e32 v4, v0
	v_pk_add_f32 v[2:3], v[2:3], v[24:25]
	v_mov_b32_e32 v5, v9
	v_mov_b32_e32 v15, v17
	ds_write_b64 v39, v[26:27] offset:1728
	ds_write2_b64 v43, v[2:3], v[4:5] offset1:108
	v_mov_b32_e32 v9, v1
	v_pk_add_f32 v[0:1], v[10:11], v[14:15]
	v_pk_add_f32 v[4:5], v[10:11], v[14:15] neg_lo:[0,1] neg_hi:[0,1]
	v_pk_fma_f32 v[0:1], v[0:1], 0.5, v[6:7] op_sel_hi:[1,0,1] neg_lo:[1,0,0] neg_hi:[1,0,0]
	v_pk_mul_f32 v[4:5], v[4:5], s[2:3] op_sel_hi:[1,0]
	v_pk_add_f32 v[2:3], v[6:7], v[10:11]
	v_pk_add_f32 v[6:7], v[0:1], v[4:5] op_sel:[0,1] op_sel_hi:[1,0]
	v_pk_add_f32 v[0:1], v[0:1], v[4:5] op_sel:[0,1] op_sel_hi:[1,0] neg_lo:[0,1] neg_hi:[0,1]
	v_pk_add_f32 v[2:3], v[2:3], v[14:15]
	v_mov_b32_e32 v4, v0
	v_mov_b32_e32 v5, v7
	;; [unrolled: 1-line block ×3, first 2 shown]
	ds_write_b64 v43, v[8:9] offset:1728
	ds_write2_b64 v47, v[2:3], v[4:5] offset1:108
	ds_write_b64 v47, v[6:7] offset:1728
	s_waitcnt lgkmcnt(0)
	s_barrier
	ds_read2_b64 v[0:3], v123 offset0:2 offset1:245
	ds_read2_b64 v[4:7], v129 offset0:6 offset1:249
	s_waitcnt lgkmcnt(1)
	v_pk_mul_f32 v[8:9], v[48:49], v[2:3] op_sel:[1,0]
	s_nop 0
	v_pk_fma_f32 v[10:11], v[48:49], v[2:3], v[8:9] op_sel:[0,0,1] op_sel_hi:[1,1,0]
	v_pk_fma_f32 v[12:13], v[48:49], v[2:3], v[8:9] op_sel:[0,0,1] op_sel_hi:[0,1,0] neg_lo:[0,0,1] neg_hi:[0,0,1]
	s_waitcnt lgkmcnt(0)
	v_pk_mul_f32 v[2:3], v[150:151], v[6:7] op_sel_hi:[0,1]
	v_pk_fma_f32 v[14:15], v[50:51], v[6:7], v[2:3] op_sel:[0,0,1] op_sel_hi:[1,1,0]
	v_pk_fma_f32 v[16:17], v[50:51], v[6:7], v[2:3] op_sel:[0,0,1] op_sel_hi:[0,1,0] neg_lo:[0,0,1] neg_hi:[0,0,1]
	v_pk_mul_f32 v[2:3], v[52:53], v[0:1] op_sel:[1,0]
	ds_read2_b64 v[6:9], v121 offset0:8 offset1:251
	v_pk_fma_f32 v[18:19], v[52:53], v[0:1], v[2:3] op_sel:[0,0,1] op_sel_hi:[1,1,0]
	v_pk_fma_f32 v[20:21], v[52:53], v[0:1], v[2:3] op_sel:[0,0,1] op_sel_hi:[0,1,0] neg_lo:[0,0,1] neg_hi:[0,0,1]
	ds_read2_b64 v[0:3], v125 offset0:12 offset1:255
	v_pk_mul_f32 v[22:23], v[144:145], v[4:5] op_sel_hi:[0,1]
	v_pk_fma_f32 v[24:25], v[54:55], v[4:5], v[22:23] op_sel:[0,0,1] op_sel_hi:[1,1,0]
	v_pk_fma_f32 v[4:5], v[54:55], v[4:5], v[22:23] op_sel:[0,0,1] op_sel_hi:[0,1,0] neg_lo:[0,0,1] neg_hi:[0,0,1]
	v_mov_b32_e32 v19, v21
	s_waitcnt lgkmcnt(0)
	v_pk_mul_f32 v[22:23], v[60:61], v[0:1] op_sel:[1,0]
	v_mov_b32_e32 v25, v5
	v_pk_fma_f32 v[26:27], v[60:61], v[0:1], v[22:23] op_sel:[0,0,1] op_sel_hi:[1,1,0]
	v_pk_fma_f32 v[0:1], v[60:61], v[0:1], v[22:23] op_sel:[0,0,1] op_sel_hi:[0,1,0] neg_lo:[0,0,1] neg_hi:[0,0,1]
	v_pk_mul_f32 v[22:23], v[148:149], v[6:7] op_sel_hi:[0,1]
	v_pk_fma_f32 v[28:29], v[62:63], v[6:7], v[22:23] op_sel:[0,0,1] op_sel_hi:[1,1,0]
	v_pk_fma_f32 v[6:7], v[62:63], v[6:7], v[22:23] op_sel:[0,0,1] op_sel_hi:[0,1,0] neg_lo:[0,0,1] neg_hi:[0,0,1]
	v_pk_mul_f32 v[22:23], v[56:57], v[2:3] op_sel:[1,0]
	v_mov_b32_e32 v27, v1
	v_pk_fma_f32 v[30:31], v[56:57], v[2:3], v[22:23] op_sel:[0,0,1] op_sel_hi:[1,1,0]
	v_pk_fma_f32 v[22:23], v[56:57], v[2:3], v[22:23] op_sel:[0,0,1] op_sel_hi:[0,1,0] neg_lo:[0,0,1] neg_hi:[0,0,1]
	v_pk_mul_f32 v[2:3], v[146:147], v[8:9] op_sel_hi:[0,1]
	v_pk_fma_f32 v[32:33], v[58:59], v[8:9], v[2:3] op_sel:[0,0,1] op_sel_hi:[1,1,0]
	v_pk_fma_f32 v[8:9], v[58:59], v[8:9], v[2:3] op_sel:[0,0,1] op_sel_hi:[0,1,0] neg_lo:[0,0,1] neg_hi:[0,0,1]
	ds_read2_b64 v[0:3], v82 offset1:243
	v_mov_b32_e32 v29, v7
	v_pk_add_f32 v[6:7], v[26:27], v[28:29]
	v_mov_b32_e32 v31, v23
	v_mov_b32_e32 v33, v9
	s_waitcnt lgkmcnt(0)
	v_pk_fma_f32 v[6:7], v[6:7], 0.5, v[0:1] op_sel_hi:[1,0,1] neg_lo:[1,0,0] neg_hi:[1,0,0]
	v_pk_add_f32 v[0:1], v[0:1], v[26:27]
	v_pk_add_f32 v[26:27], v[26:27], v[28:29] neg_lo:[0,1] neg_hi:[0,1]
	v_pk_add_f32 v[22:23], v[2:3], v[30:31]
	v_pk_mul_f32 v[26:27], v[26:27], s[2:3] op_sel_hi:[1,0]
	v_pk_add_f32 v[34:35], v[0:1], v[28:29]
	v_pk_add_f32 v[28:29], v[6:7], v[26:27] op_sel:[0,1] op_sel_hi:[1,0]
	v_pk_add_f32 v[6:7], v[6:7], v[26:27] op_sel:[0,1] op_sel_hi:[1,0] neg_lo:[0,1] neg_hi:[0,1]
	v_pk_add_f32 v[8:9], v[30:31], v[32:33]
	v_mov_b32_e32 v26, v6
	v_mov_b32_e32 v27, v29
	;; [unrolled: 1-line block ×3, first 2 shown]
	v_pk_add_f32 v[6:7], v[22:23], v[32:33]
	v_pk_fma_f32 v[8:9], v[8:9], 0.5, v[2:3] op_sel_hi:[1,0,1] neg_lo:[1,0,0] neg_hi:[1,0,0]
	ds_read2_b64 v[0:3], v131 offset0:6 offset1:249
	s_waitcnt lgkmcnt(0)
	s_barrier
	ds_write_b64 v82, v[34:35]
	ds_write_b64 v82, v[26:27] offset:2592
	ds_write_b64 v82, v[28:29] offset:5184
	ds_write_b64 v51, v[6:7]
	v_pk_add_f32 v[6:7], v[30:31], v[32:33] neg_lo:[0,1] neg_hi:[0,1]
	v_pk_add_f32 v[4:5], v[18:19], v[24:25]
	v_pk_mul_f32 v[6:7], v[6:7], s[2:3] op_sel_hi:[1,0]
	v_pk_fma_f32 v[4:5], v[4:5], 0.5, v[0:1] op_sel_hi:[1,0,1] neg_lo:[1,0,0] neg_hi:[1,0,0]
	v_pk_add_f32 v[22:23], v[8:9], v[6:7] op_sel:[0,1] op_sel_hi:[1,0] neg_lo:[0,1] neg_hi:[0,1]
	v_pk_add_f32 v[6:7], v[8:9], v[6:7] op_sel:[0,1] op_sel_hi:[1,0]
	v_mov_b32_e32 v8, v22
	v_mov_b32_e32 v9, v7
	;; [unrolled: 1-line block ×3, first 2 shown]
	ds_write_b64 v51, v[6:7] offset:5184
	v_pk_add_f32 v[6:7], v[18:19], v[24:25] neg_lo:[0,1] neg_hi:[0,1]
	v_pk_add_f32 v[0:1], v[0:1], v[18:19]
	v_pk_mul_f32 v[6:7], v[6:7], s[2:3] op_sel_hi:[1,0]
	ds_write_b64 v51, v[8:9] offset:2592
	v_pk_add_f32 v[8:9], v[4:5], v[6:7] op_sel:[0,1] op_sel_hi:[1,0]
	v_pk_add_f32 v[4:5], v[4:5], v[6:7] op_sel:[0,1] op_sel_hi:[1,0] neg_lo:[0,1] neg_hi:[0,1]
	v_pk_add_f32 v[0:1], v[0:1], v[24:25]
	ds_write_b64 v59, v[0:1]
	v_mov_b32_e32 v0, v4
	v_mov_b32_e32 v1, v9
	;; [unrolled: 1-line block ×4, first 2 shown]
	ds_write_b64 v59, v[0:1] offset:2592
	v_mov_b32_e32 v9, v5
	v_pk_add_f32 v[0:1], v[10:11], v[14:15]
	v_pk_add_f32 v[4:5], v[10:11], v[14:15] neg_lo:[0,1] neg_hi:[0,1]
	v_pk_fma_f32 v[0:1], v[0:1], 0.5, v[2:3] op_sel_hi:[1,0,1] neg_lo:[1,0,0] neg_hi:[1,0,0]
	v_pk_add_f32 v[2:3], v[2:3], v[10:11]
	v_pk_mul_f32 v[4:5], v[4:5], s[2:3] op_sel_hi:[1,0]
	v_pk_add_f32 v[2:3], v[2:3], v[14:15]
	v_pk_add_f32 v[6:7], v[0:1], v[4:5] op_sel:[0,1] op_sel_hi:[1,0]
	v_pk_add_f32 v[0:1], v[0:1], v[4:5] op_sel:[0,1] op_sel_hi:[1,0] neg_lo:[0,1] neg_hi:[0,1]
	ds_write_b64 v59, v[8:9] offset:5184
	ds_write_b64 v55, v[2:3] offset:15552
	v_mov_b32_e32 v2, v0
	v_mov_b32_e32 v3, v7
	;; [unrolled: 1-line block ×3, first 2 shown]
	ds_write_b64 v55, v[2:3] offset:18144
	ds_write_b64 v55, v[6:7] offset:20736
	s_waitcnt lgkmcnt(0)
	s_barrier
	ds_read2_b64 v[0:3], v125 offset0:12 offset1:255
	ds_read2_b64 v[4:7], v121 offset0:8 offset1:251
	s_waitcnt lgkmcnt(1)
	v_pk_mul_f32 v[8:9], v[64:65], v[0:1] op_sel:[1,0]
	s_nop 0
	v_pk_fma_f32 v[12:13], v[64:65], v[0:1], v[8:9] op_sel:[0,0,1] op_sel_hi:[1,1,0]
	v_pk_fma_f32 v[14:15], v[64:65], v[0:1], v[8:9] op_sel:[0,0,1] op_sel_hi:[0,1,0] neg_lo:[0,0,1] neg_hi:[0,0,1]
	s_waitcnt lgkmcnt(0)
	v_pk_mul_f32 v[0:1], v[158:159], v[4:5] op_sel_hi:[0,1]
	v_pk_fma_f32 v[16:17], v[66:67], v[4:5], v[0:1] op_sel:[0,0,1] op_sel_hi:[1,1,0]
	v_pk_fma_f32 v[4:5], v[66:67], v[4:5], v[0:1] op_sel:[0,0,1] op_sel_hi:[0,1,0] neg_lo:[0,0,1] neg_hi:[0,0,1]
	v_pk_mul_f32 v[0:1], v[68:69], v[2:3] op_sel:[1,0]
	ds_read2_b64 v[8:11], v129 offset0:6 offset1:249
	v_pk_fma_f32 v[18:19], v[68:69], v[2:3], v[0:1] op_sel:[0,0,1] op_sel_hi:[1,1,0]
	v_pk_fma_f32 v[20:21], v[68:69], v[2:3], v[0:1] op_sel:[0,0,1] op_sel_hi:[0,1,0] neg_lo:[0,0,1] neg_hi:[0,0,1]
	ds_read2_b64 v[0:3], v123 offset0:2 offset1:245
	v_pk_mul_f32 v[22:23], v[152:153], v[6:7] op_sel_hi:[0,1]
	v_pk_fma_f32 v[24:25], v[70:71], v[6:7], v[22:23] op_sel:[0,0,1] op_sel_hi:[1,1,0]
	v_pk_fma_f32 v[6:7], v[70:71], v[6:7], v[22:23] op_sel:[0,0,1] op_sel_hi:[0,1,0] neg_lo:[0,0,1] neg_hi:[0,0,1]
	v_mov_b32_e32 v13, v15
	s_waitcnt lgkmcnt(0)
	v_pk_mul_f32 v[22:23], v[72:73], v[0:1] op_sel:[1,0]
	v_mov_b32_e32 v17, v5
	v_pk_fma_f32 v[26:27], v[72:73], v[0:1], v[22:23] op_sel:[0,0,1] op_sel_hi:[1,1,0]
	v_pk_fma_f32 v[22:23], v[72:73], v[0:1], v[22:23] op_sel:[0,0,1] op_sel_hi:[0,1,0] neg_lo:[0,0,1] neg_hi:[0,0,1]
	v_pk_mul_f32 v[0:1], v[156:157], v[8:9] op_sel_hi:[0,1]
	v_pk_fma_f32 v[28:29], v[74:75], v[8:9], v[0:1] op_sel:[0,0,1] op_sel_hi:[1,1,0]
	v_pk_fma_f32 v[8:9], v[74:75], v[8:9], v[0:1] op_sel:[0,0,1] op_sel_hi:[0,1,0] neg_lo:[0,0,1] neg_hi:[0,0,1]
	v_pk_mul_f32 v[0:1], v[76:77], v[2:3] op_sel:[1,0]
	v_mov_b32_e32 v29, v9
	v_pk_fma_f32 v[30:31], v[76:77], v[2:3], v[0:1] op_sel:[0,0,1] op_sel_hi:[1,1,0]
	v_pk_fma_f32 v[32:33], v[76:77], v[2:3], v[0:1] op_sel:[0,0,1] op_sel_hi:[0,1,0] neg_lo:[0,0,1] neg_hi:[0,0,1]
	v_pk_mul_f32 v[0:1], v[154:155], v[10:11] op_sel_hi:[0,1]
	v_pk_fma_f32 v[34:35], v[78:79], v[10:11], v[0:1] op_sel:[0,0,1] op_sel_hi:[1,1,0]
	v_pk_fma_f32 v[10:11], v[78:79], v[10:11], v[0:1] op_sel:[0,0,1] op_sel_hi:[0,1,0] neg_lo:[0,0,1] neg_hi:[0,0,1]
	ds_read2_b64 v[0:3], v82 offset1:243
	v_mov_b32_e32 v19, v21
	v_mov_b32_e32 v35, v11
	;; [unrolled: 1-line block ×4, first 2 shown]
	s_waitcnt lgkmcnt(0)
	v_pk_add_f32 v[4:5], v[0:1], v[12:13]
	v_mov_b32_e32 v31, v33
	v_pk_add_f32 v[8:9], v[4:5], v[16:17]
	v_pk_add_f32 v[4:5], v[12:13], v[16:17]
	s_nop 0
	v_pk_fma_f32 v[0:1], v[4:5], 0.5, v[0:1] op_sel_hi:[1,0,1] neg_lo:[1,0,0] neg_hi:[1,0,0]
	v_pk_add_f32 v[4:5], v[12:13], v[16:17] neg_lo:[0,1] neg_hi:[0,1]
	s_nop 0
	v_pk_mul_f32 v[4:5], v[4:5], s[2:3] op_sel_hi:[1,0]
	s_nop 0
	v_pk_add_f32 v[10:11], v[0:1], v[4:5] op_sel:[0,1] op_sel_hi:[1,0] neg_lo:[0,1] neg_hi:[0,1]
	v_pk_add_f32 v[0:1], v[0:1], v[4:5] op_sel:[0,1] op_sel_hi:[1,0]
	v_mov_b32_e32 v4, v10
	v_mov_b32_e32 v5, v1
	;; [unrolled: 1-line block ×3, first 2 shown]
	v_pk_add_f32 v[10:11], v[2:3], v[18:19]
	ds_write_b64 v82, v[4:5] offset:7776
	v_pk_add_f32 v[10:11], v[10:11], v[24:25]
	ds_read2_b64 v[4:7], v131 offset0:6 offset1:249
	ds_write_b64 v82, v[0:1] offset:15552
	ds_write2_b64 v82, v[8:9], v[10:11] offset1:243
	v_pk_add_f32 v[10:11], v[18:19], v[24:25]
	s_waitcnt lgkmcnt(2)
	v_pk_add_f32 v[0:1], v[4:5], v[26:27]
	v_pk_fma_f32 v[2:3], v[10:11], 0.5, v[2:3] op_sel_hi:[1,0,1] neg_lo:[1,0,0] neg_hi:[1,0,0]
	v_pk_add_f32 v[10:11], v[18:19], v[24:25] neg_lo:[0,1] neg_hi:[0,1]
	v_pk_add_f32 v[0:1], v[0:1], v[28:29]
	v_pk_mul_f32 v[10:11], v[10:11], s[2:3] op_sel_hi:[1,0]
	v_pk_add_f32 v[8:9], v[6:7], v[30:31]
	v_pk_add_f32 v[12:13], v[2:3], v[10:11] op_sel:[0,1] op_sel_hi:[1,0] neg_lo:[0,1] neg_hi:[0,1]
	v_pk_add_f32 v[2:3], v[2:3], v[10:11] op_sel:[0,1] op_sel_hi:[1,0]
	v_mov_b32_e32 v10, v12
	v_mov_b32_e32 v11, v3
	;; [unrolled: 1-line block ×3, first 2 shown]
	v_pk_add_f32 v[12:13], v[26:27], v[28:29]
	v_pk_add_f32 v[8:9], v[8:9], v[34:35]
	v_pk_fma_f32 v[4:5], v[12:13], 0.5, v[4:5] op_sel_hi:[1,0,1] neg_lo:[1,0,0] neg_hi:[1,0,0]
	v_pk_add_f32 v[12:13], v[26:27], v[28:29] neg_lo:[0,1] neg_hi:[0,1]
	s_nop 0
	v_pk_mul_f32 v[12:13], v[12:13], s[2:3] op_sel_hi:[1,0]
	s_nop 0
	v_pk_add_f32 v[14:15], v[4:5], v[12:13] op_sel:[0,1] op_sel_hi:[1,0] neg_lo:[0,1] neg_hi:[0,1]
	v_pk_add_f32 v[4:5], v[4:5], v[12:13] op_sel:[0,1] op_sel_hi:[1,0]
	v_mov_b32_e32 v12, v14
	v_mov_b32_e32 v13, v5
	;; [unrolled: 1-line block ×3, first 2 shown]
	ds_write2_b64 v63, v[10:11], v[12:13] offset0:7 offset1:250
	ds_write2_b64 v67, v[2:3], v[4:5] offset0:11 offset1:254
	;; [unrolled: 1-line block ×3, first 2 shown]
	v_pk_add_f32 v[0:1], v[30:31], v[34:35]
	v_pk_add_f32 v[2:3], v[30:31], v[34:35] neg_lo:[0,1] neg_hi:[0,1]
	v_pk_fma_f32 v[0:1], v[0:1], 0.5, v[6:7] op_sel_hi:[1,0,1] neg_lo:[1,0,0] neg_hi:[1,0,0]
	v_pk_mul_f32 v[2:3], v[2:3], s[2:3] op_sel_hi:[1,0]
	v_mov_b32_e32 v8, s0
	v_pk_add_f32 v[4:5], v[0:1], v[2:3] op_sel:[0,1] op_sel_hi:[1,0] neg_lo:[0,1] neg_hi:[0,1]
	v_pk_add_f32 v[0:1], v[0:1], v[2:3] op_sel:[0,1] op_sel_hi:[1,0]
	v_mov_b32_e32 v2, v4
	v_mov_b32_e32 v3, v1
	;; [unrolled: 1-line block ×3, first 2 shown]
	ds_write_b64 v82, v[2:3] offset:13608
	ds_write_b64 v82, v[0:1] offset:21384
	s_waitcnt lgkmcnt(0)
	s_barrier
	ds_read2_b64 v[0:3], v82 offset1:243
	v_mov_b32_e32 v9, s1
	s_mov_b32 s0, 0xe0bf08c7
	s_mov_b32 s1, 0x3f367980
	v_lshl_add_u64 v[8:9], v[80:81], 3, v[8:9]
	s_waitcnt lgkmcnt(0)
	v_mul_f32_e32 v4, v111, v1
	v_fmac_f32_e32 v4, v110, v0
	v_mul_f32_e32 v0, v111, v0
	v_fma_f32 v0, v110, v1, -v0
	v_cvt_f64_f32_e32 v[0:1], v0
	v_cvt_f64_f32_e32 v[4:5], v4
	v_mul_f64 v[0:1], v[0:1], s[0:1]
	v_mul_f64 v[4:5], v[4:5], s[0:1]
	v_cvt_f32_f64_e32 v11, v[0:1]
	v_mad_u64_u32 v[0:1], s[2:3], s4, v96, 0
	v_cvt_f32_f64_e32 v10, v[4:5]
	v_mov_b32_e32 v4, v1
	v_mad_u64_u32 v[12:13], s[2:3], s5, v96, v[4:5]
	ds_read2_b64 v[4:7], v131 offset0:6 offset1:249
	v_mov_b32_e32 v1, v12
	v_lshl_add_u64 v[0:1], v[0:1], 3, v[8:9]
	global_store_dwordx2 v[0:1], v[10:11], off
	v_mad_u64_u32 v[0:1], s[2:3], s4, v109, v[0:1]
	s_waitcnt lgkmcnt(0)
	v_mul_f32_e32 v8, v107, v5
	v_fmac_f32_e32 v8, v106, v4
	v_cvt_f64_f32_e32 v[8:9], v8
	v_mul_f64 v[8:9], v[8:9], s[0:1]
	v_cvt_f32_f64_e32 v12, v[8:9]
	ds_read2_b64 v[8:11], v125 offset0:12 offset1:255
	v_mul_f32_e32 v4, v107, v4
	v_fma_f32 v4, v106, v5, -v4
	v_cvt_f64_f32_e32 v[4:5], v4
	v_mul_f64 v[4:5], v[4:5], s[0:1]
	v_cvt_f32_f64_e32 v13, v[4:5]
	s_waitcnt lgkmcnt(0)
	v_mul_f32_e32 v4, v101, v9
	v_fmac_f32_e32 v4, v100, v8
	v_cvt_f64_f32_e32 v[4:5], v4
	v_add_u32_e32 v1, s6, v1
	v_mul_f64 v[4:5], v[4:5], s[0:1]
	global_store_dwordx2 v[0:1], v[12:13], off
	v_cvt_f32_f64_e32 v4, v[4:5]
	v_mul_f32_e32 v5, v101, v8
	ds_read2_b64 v[12:15], v123 offset0:2 offset1:245
	v_fma_f32 v5, v100, v9, -v5
	v_cvt_f64_f32_e32 v[8:9], v5
	v_mul_f64 v[8:9], v[8:9], s[0:1]
	v_mad_u64_u32 v[0:1], s[2:3], s4, v109, v[0:1]
	v_cvt_f32_f64_e32 v5, v[8:9]
	v_add_u32_e32 v1, s6, v1
	global_store_dwordx2 v[0:1], v[4:5], off
	s_waitcnt lgkmcnt(0)
	v_mul_f32_e32 v4, v95, v13
	v_fmac_f32_e32 v4, v94, v12
	v_cvt_f64_f32_e32 v[4:5], v4
	v_mul_f64 v[4:5], v[4:5], s[0:1]
	v_cvt_f32_f64_e32 v4, v[4:5]
	v_mul_f32_e32 v5, v95, v12
	ds_read2_b64 v[16:19], v121 offset0:8 offset1:251
	v_fma_f32 v5, v94, v13, -v5
	v_cvt_f64_f32_e32 v[8:9], v5
	v_mul_f64 v[8:9], v[8:9], s[0:1]
	v_mad_u64_u32 v[0:1], s[2:3], s4, v109, v[0:1]
	v_cvt_f32_f64_e32 v5, v[8:9]
	v_add_u32_e32 v1, s6, v1
	global_store_dwordx2 v[0:1], v[4:5], off
	s_waitcnt lgkmcnt(0)
	v_mul_f32_e32 v4, v99, v17
	v_fmac_f32_e32 v4, v98, v16
	v_cvt_f64_f32_e32 v[4:5], v4
	v_mul_f64 v[4:5], v[4:5], s[0:1]
	v_cvt_f32_f64_e32 v4, v[4:5]
	v_mul_f32_e32 v5, v99, v16
	ds_read2_b64 v[20:23], v129 offset0:6 offset1:249
	v_fma_f32 v5, v98, v17, -v5
	v_cvt_f64_f32_e32 v[8:9], v5
	v_mul_f64 v[8:9], v[8:9], s[0:1]
	v_mad_u64_u32 v[0:1], s[2:3], s4, v109, v[0:1]
	v_cvt_f32_f64_e32 v5, v[8:9]
	v_add_u32_e32 v1, s6, v1
	global_store_dwordx2 v[0:1], v[4:5], off
	s_waitcnt lgkmcnt(0)
	v_mul_f32_e32 v4, v91, v21
	v_fmac_f32_e32 v4, v90, v20
	v_cvt_f64_f32_e32 v[4:5], v4
	v_mul_f64 v[4:5], v[4:5], s[0:1]
	v_cvt_f32_f64_e32 v4, v[4:5]
	v_mul_f32_e32 v5, v91, v20
	v_fma_f32 v5, v90, v21, -v5
	v_cvt_f64_f32_e32 v[8:9], v5
	v_mul_f64 v[8:9], v[8:9], s[0:1]
	v_mad_u64_u32 v[0:1], s[2:3], s4, v109, v[0:1]
	v_cvt_f32_f64_e32 v5, v[8:9]
	v_add_u32_e32 v1, s6, v1
	global_store_dwordx2 v[0:1], v[4:5], off
	v_mul_f32_e32 v4, v93, v3
	v_fmac_f32_e32 v4, v92, v2
	v_mul_f32_e32 v2, v93, v2
	v_fma_f32 v2, v92, v3, -v2
	v_cvt_f64_f32_e32 v[4:5], v4
	v_cvt_f64_f32_e32 v[2:3], v2
	v_mul_f64 v[4:5], v[4:5], s[0:1]
	v_mul_f64 v[2:3], v[2:3], s[0:1]
	v_cvt_f32_f64_e32 v4, v[4:5]
	v_cvt_f32_f64_e32 v5, v[2:3]
	v_mul_f32_e32 v2, v105, v7
	v_fmac_f32_e32 v2, v104, v6
	v_mad_u64_u32 v[0:1], s[2:3], s4, v119, v[0:1]
	v_cvt_f64_f32_e32 v[2:3], v2
	s_mul_i32 s2, s5, 0xffffbba8
	v_mul_f64 v[2:3], v[2:3], s[0:1]
	s_sub_i32 s2, s2, s4
	v_cvt_f32_f64_e32 v2, v[2:3]
	v_mul_f32_e32 v3, v105, v6
	v_add_u32_e32 v1, s2, v1
	v_fma_f32 v3, v104, v7, -v3
	global_store_dwordx2 v[0:1], v[4:5], off
	v_cvt_f64_f32_e32 v[4:5], v3
	v_mul_f64 v[4:5], v[4:5], s[0:1]
	v_mad_u64_u32 v[0:1], s[2:3], s4, v109, v[0:1]
	v_cvt_f32_f64_e32 v3, v[4:5]
	v_add_u32_e32 v1, s6, v1
	global_store_dwordx2 v[0:1], v[2:3], off
	v_mul_f32_e32 v2, v87, v11
	v_fmac_f32_e32 v2, v86, v10
	v_cvt_f64_f32_e32 v[2:3], v2
	v_mul_f64 v[2:3], v[2:3], s[0:1]
	v_cvt_f32_f64_e32 v2, v[2:3]
	v_mul_f32_e32 v3, v87, v10
	v_fma_f32 v3, v86, v11, -v3
	v_cvt_f64_f32_e32 v[4:5], v3
	v_mul_f64 v[4:5], v[4:5], s[0:1]
	v_mad_u64_u32 v[0:1], s[2:3], s4, v109, v[0:1]
	v_cvt_f32_f64_e32 v3, v[4:5]
	v_add_u32_e32 v1, s6, v1
	global_store_dwordx2 v[0:1], v[2:3], off
	v_mul_f32_e32 v2, v103, v15
	v_fmac_f32_e32 v2, v102, v14
	v_cvt_f64_f32_e32 v[2:3], v2
	v_mul_f64 v[2:3], v[2:3], s[0:1]
	v_cvt_f32_f64_e32 v2, v[2:3]
	v_mul_f32_e32 v3, v103, v14
	v_fma_f32 v3, v102, v15, -v3
	;; [unrolled: 13-line block ×4, first 2 shown]
	v_cvt_f64_f32_e32 v[4:5], v3
	v_mul_f64 v[4:5], v[4:5], s[0:1]
	v_mad_u64_u32 v[0:1], s[0:1], s4, v109, v[0:1]
	v_cvt_f32_f64_e32 v3, v[4:5]
	v_add_u32_e32 v1, s6, v1
	global_store_dwordx2 v[0:1], v[2:3], off
.LBB0_2:
	s_endpgm
	.section	.rodata,"a",@progbits
	.p2align	6, 0x0
	.amdhsa_kernel bluestein_single_fwd_len2916_dim1_sp_op_CI_CI
		.amdhsa_group_segment_fixed_size 23328
		.amdhsa_private_segment_fixed_size 0
		.amdhsa_kernarg_size 104
		.amdhsa_user_sgpr_count 2
		.amdhsa_user_sgpr_dispatch_ptr 0
		.amdhsa_user_sgpr_queue_ptr 0
		.amdhsa_user_sgpr_kernarg_segment_ptr 1
		.amdhsa_user_sgpr_dispatch_id 0
		.amdhsa_user_sgpr_kernarg_preload_length 0
		.amdhsa_user_sgpr_kernarg_preload_offset 0
		.amdhsa_user_sgpr_private_segment_size 0
		.amdhsa_uses_dynamic_stack 0
		.amdhsa_enable_private_segment 0
		.amdhsa_system_sgpr_workgroup_id_x 1
		.amdhsa_system_sgpr_workgroup_id_y 0
		.amdhsa_system_sgpr_workgroup_id_z 0
		.amdhsa_system_sgpr_workgroup_info 0
		.amdhsa_system_vgpr_workitem_id 0
		.amdhsa_next_free_vgpr 196
		.amdhsa_next_free_sgpr 20
		.amdhsa_accum_offset 196
		.amdhsa_reserve_vcc 1
		.amdhsa_float_round_mode_32 0
		.amdhsa_float_round_mode_16_64 0
		.amdhsa_float_denorm_mode_32 3
		.amdhsa_float_denorm_mode_16_64 3
		.amdhsa_dx10_clamp 1
		.amdhsa_ieee_mode 1
		.amdhsa_fp16_overflow 0
		.amdhsa_tg_split 0
		.amdhsa_exception_fp_ieee_invalid_op 0
		.amdhsa_exception_fp_denorm_src 0
		.amdhsa_exception_fp_ieee_div_zero 0
		.amdhsa_exception_fp_ieee_overflow 0
		.amdhsa_exception_fp_ieee_underflow 0
		.amdhsa_exception_fp_ieee_inexact 0
		.amdhsa_exception_int_div_zero 0
	.end_amdhsa_kernel
	.text
.Lfunc_end0:
	.size	bluestein_single_fwd_len2916_dim1_sp_op_CI_CI, .Lfunc_end0-bluestein_single_fwd_len2916_dim1_sp_op_CI_CI
                                        ; -- End function
	.section	.AMDGPU.csdata,"",@progbits
; Kernel info:
; codeLenInByte = 12444
; NumSgprs: 26
; NumVgprs: 196
; NumAgprs: 0
; TotalNumVgprs: 196
; ScratchSize: 0
; MemoryBound: 0
; FloatMode: 240
; IeeeMode: 1
; LDSByteSize: 23328 bytes/workgroup (compile time only)
; SGPRBlocks: 3
; VGPRBlocks: 24
; NumSGPRsForWavesPerEU: 26
; NumVGPRsForWavesPerEU: 196
; AccumOffset: 196
; Occupancy: 2
; WaveLimiterHint : 1
; COMPUTE_PGM_RSRC2:SCRATCH_EN: 0
; COMPUTE_PGM_RSRC2:USER_SGPR: 2
; COMPUTE_PGM_RSRC2:TRAP_HANDLER: 0
; COMPUTE_PGM_RSRC2:TGID_X_EN: 1
; COMPUTE_PGM_RSRC2:TGID_Y_EN: 0
; COMPUTE_PGM_RSRC2:TGID_Z_EN: 0
; COMPUTE_PGM_RSRC2:TIDIG_COMP_CNT: 0
; COMPUTE_PGM_RSRC3_GFX90A:ACCUM_OFFSET: 48
; COMPUTE_PGM_RSRC3_GFX90A:TG_SPLIT: 0
	.text
	.p2alignl 6, 3212836864
	.fill 256, 4, 3212836864
	.type	__hip_cuid_aa68abbb9ebd9f5d,@object ; @__hip_cuid_aa68abbb9ebd9f5d
	.section	.bss,"aw",@nobits
	.globl	__hip_cuid_aa68abbb9ebd9f5d
__hip_cuid_aa68abbb9ebd9f5d:
	.byte	0                               ; 0x0
	.size	__hip_cuid_aa68abbb9ebd9f5d, 1

	.ident	"AMD clang version 19.0.0git (https://github.com/RadeonOpenCompute/llvm-project roc-6.4.0 25133 c7fe45cf4b819c5991fe208aaa96edf142730f1d)"
	.section	".note.GNU-stack","",@progbits
	.addrsig
	.addrsig_sym __hip_cuid_aa68abbb9ebd9f5d
	.amdgpu_metadata
---
amdhsa.kernels:
  - .agpr_count:     0
    .args:
      - .actual_access:  read_only
        .address_space:  global
        .offset:         0
        .size:           8
        .value_kind:     global_buffer
      - .actual_access:  read_only
        .address_space:  global
        .offset:         8
        .size:           8
        .value_kind:     global_buffer
      - .actual_access:  read_only
        .address_space:  global
        .offset:         16
        .size:           8
        .value_kind:     global_buffer
      - .actual_access:  read_only
        .address_space:  global
        .offset:         24
        .size:           8
        .value_kind:     global_buffer
      - .actual_access:  read_only
        .address_space:  global
        .offset:         32
        .size:           8
        .value_kind:     global_buffer
      - .offset:         40
        .size:           8
        .value_kind:     by_value
      - .address_space:  global
        .offset:         48
        .size:           8
        .value_kind:     global_buffer
      - .address_space:  global
        .offset:         56
        .size:           8
        .value_kind:     global_buffer
      - .address_space:  global
        .offset:         64
        .size:           8
        .value_kind:     global_buffer
      - .address_space:  global
        .offset:         72
        .size:           8
        .value_kind:     global_buffer
      - .offset:         80
        .size:           4
        .value_kind:     by_value
      - .address_space:  global
        .offset:         88
        .size:           8
        .value_kind:     global_buffer
      - .address_space:  global
        .offset:         96
        .size:           8
        .value_kind:     global_buffer
    .group_segment_fixed_size: 23328
    .kernarg_segment_align: 8
    .kernarg_segment_size: 104
    .language:       OpenCL C
    .language_version:
      - 2
      - 0
    .max_flat_workgroup_size: 243
    .name:           bluestein_single_fwd_len2916_dim1_sp_op_CI_CI
    .private_segment_fixed_size: 0
    .sgpr_count:     26
    .sgpr_spill_count: 0
    .symbol:         bluestein_single_fwd_len2916_dim1_sp_op_CI_CI.kd
    .uniform_work_group_size: 1
    .uses_dynamic_stack: false
    .vgpr_count:     196
    .vgpr_spill_count: 0
    .wavefront_size: 64
amdhsa.target:   amdgcn-amd-amdhsa--gfx950
amdhsa.version:
  - 1
  - 2
...

	.end_amdgpu_metadata
